;; amdgpu-corpus repo=ROCm/rocFFT kind=compiled arch=gfx906 opt=O3
	.text
	.amdgcn_target "amdgcn-amd-amdhsa--gfx906"
	.amdhsa_code_object_version 6
	.protected	bluestein_single_back_len2401_dim1_half_op_CI_CI ; -- Begin function bluestein_single_back_len2401_dim1_half_op_CI_CI
	.globl	bluestein_single_back_len2401_dim1_half_op_CI_CI
	.p2align	8
	.type	bluestein_single_back_len2401_dim1_half_op_CI_CI,@function
bluestein_single_back_len2401_dim1_half_op_CI_CI: ; @bluestein_single_back_len2401_dim1_half_op_CI_CI
; %bb.0:
	s_load_dwordx4 s[16:19], s[4:5], 0x28
	s_mov_b64 s[22:23], s[2:3]
	v_mul_u32_u24_e32 v1, 0x53a, v0
	s_mov_b64 s[20:21], s[0:1]
	v_add_u32_sdwa v3, s6, v1 dst_sel:DWORD dst_unused:UNUSED_PAD src0_sel:DWORD src1_sel:WORD_1
	v_mov_b32_e32 v4, 0
	s_add_u32 s20, s20, s7
	s_waitcnt lgkmcnt(0)
	v_cmp_gt_u64_e32 vcc, s[16:17], v[3:4]
	s_addc_u32 s21, s21, 0
	s_and_saveexec_b64 s[0:1], vcc
	s_cbranch_execz .LBB0_2
; %bb.1:
	s_load_dwordx4 s[8:11], s[4:5], 0x18
	s_load_dwordx4 s[0:3], s[4:5], 0x0
	v_mov_b32_e32 v4, v3
	v_mov_b32_e32 v2, 49
	v_mul_lo_u16_sdwa v1, v1, v2 dst_sel:DWORD dst_unused:UNUSED_PAD src0_sel:WORD_1 src1_sel:DWORD
	s_waitcnt lgkmcnt(0)
	s_load_dwordx4 s[12:15], s[8:9], 0x0
	buffer_store_dword v4, off, s[20:23], 0 offset:152 ; 4-byte Folded Spill
	s_nop 0
	buffer_store_dword v5, off, s[20:23], 0 offset:156 ; 4-byte Folded Spill
	v_sub_u16_e32 v105, v0, v1
	v_lshlrev_b32_e32 v134, 2, v105
	global_load_dword v18, v134, s[0:1]
	s_waitcnt lgkmcnt(0)
	v_mad_u64_u32 v[0:1], s[6:7], s14, v3, 0
	v_mad_u64_u32 v[2:3], s[6:7], s12, v105, 0
	s_movk_i32 s8, 0x1000
	s_movk_i32 s14, 0x2000
	v_add_u32_e32 v194, 0x400, v134
	v_add_u32_e32 v187, 0x1000, v134
	;; [unrolled: 1-line block ×9, first 2 shown]
	v_mul_lo_u16_e32 v104, 7, v105
	v_lshlrev_b32_e32 v202, 2, v104
	s_movk_i32 s16, 0x62
	s_load_dwordx2 s[4:5], s[4:5], 0x38
	v_mad_u64_u32 v[4:5], s[6:7], s15, v4, v[1:2]
	s_movk_i32 s15, 0x3b00
	v_mad_u64_u32 v[5:6], s[6:7], s13, v105, v[3:4]
	v_mov_b32_e32 v1, v4
	v_lshlrev_b64 v[0:1], 2, v[0:1]
	v_mov_b32_e32 v6, s19
	v_mov_b32_e32 v3, v5
	v_add_co_u32_e32 v4, vcc, s18, v0
	v_addc_co_u32_e32 v5, vcc, v6, v1, vcc
	v_lshlrev_b64 v[0:1], 2, v[2:3]
	s_mul_i32 s6, s13, 0x55c
	v_add_co_u32_e32 v0, vcc, v4, v0
	s_mul_hi_u32 s7, s12, 0x55c
	v_addc_co_u32_e32 v1, vcc, v5, v1, vcc
	s_add_i32 s6, s7, s6
	s_mul_i32 s7, s12, 0x55c
	global_load_dword v8, v[0:1], off
	v_mov_b32_e32 v2, s6
	v_add_co_u32_e32 v0, vcc, s7, v0
	v_addc_co_u32_e32 v1, vcc, v1, v2, vcc
	global_load_dword v9, v[0:1], off
	global_load_dword v196, v134, s[0:1] offset:1372
	v_add_co_u32_e32 v0, vcc, s7, v0
	v_addc_co_u32_e32 v1, vcc, v1, v2, vcc
	global_load_dword v7, v[0:1], off
	v_mov_b32_e32 v3, s6
	v_add_co_u32_e32 v2, vcc, s7, v0
	global_load_dword v17, v134, s[0:1] offset:2744
	v_addc_co_u32_e32 v3, vcc, v1, v3, vcc
	v_mov_b32_e32 v4, s1
	v_add_co_u32_e32 v200, vcc, s0, v134
	v_addc_co_u32_e32 v201, vcc, 0, v4, vcc
	v_add_co_u32_e32 v0, vcc, s8, v200
	global_load_dword v5, v[2:3], off
	v_addc_co_u32_e32 v1, vcc, 0, v201, vcc
	global_load_dword v199, v[0:1], off offset:20
	v_mov_b32_e32 v4, s6
	v_add_co_u32_e32 v2, vcc, s7, v2
	v_addc_co_u32_e32 v3, vcc, v3, v4, vcc
	global_load_dword v6, v[2:3], off
	global_load_dword v16, v[0:1], off offset:1392
	v_add_co_u32_e32 v2, vcc, s7, v2
	v_addc_co_u32_e32 v3, vcc, v3, v4, vcc
	global_load_dword v4, v[2:3], off
	s_load_dwordx4 s[8:11], s[10:11], 0x0
	global_load_dword v15, v134, s[0:1] offset:196
	global_load_dword v27, v134, s[0:1] offset:392
	;; [unrolled: 1-line block ×6, first 2 shown]
	global_load_dword v195, v[0:1], off offset:2764
	v_mov_b32_e32 v10, s6
	v_add_co_u32_e32 v2, vcc, s7, v2
	v_addc_co_u32_e32 v3, vcc, v3, v10, vcc
	v_add_co_u32_e32 v89, vcc, s14, v200
	global_load_dword v10, v[2:3], off
	v_addc_co_u32_e32 v90, vcc, 0, v201, vcc
	s_mul_hi_u32 s14, s12, 0xffffe09c
	s_mulk_i32 s13, 0xe09c
	s_sub_i32 s14, s14, s12
	s_add_i32 s13, s14, s13
	s_mulk_i32 s12, 0xe09c
	v_add_co_u32_e32 v2, vcc, s12, v2
	s_waitcnt vmcnt(18)
	buffer_store_dword v18, off, s[20:23], 0 offset:176 ; 4-byte Folded Spill
	s_movk_i32 s14, 0x370e
	s_waitcnt vmcnt(18)
	v_lshrrev_b32_e32 v11, 16, v8
	v_mul_f16_sdwa v12, v18, v8 dst_sel:DWORD dst_unused:UNUSED_PAD src0_sel:WORD_1 src1_sel:DWORD
	v_mul_f16_sdwa v13, v18, v11 dst_sel:DWORD dst_unused:UNUSED_PAD src0_sel:WORD_1 src1_sel:DWORD
	v_fma_f16 v11, v18, v11, -v12
	v_fma_f16 v8, v18, v8, v13
	s_waitcnt vmcnt(17)
	v_lshrrev_b32_e32 v12, 16, v9
	s_waitcnt vmcnt(16)
	v_mul_f16_sdwa v13, v196, v12 dst_sel:DWORD dst_unused:UNUSED_PAD src0_sel:WORD_1 src1_sel:DWORD
	v_mul_f16_sdwa v14, v196, v9 dst_sel:DWORD dst_unused:UNUSED_PAD src0_sel:WORD_1 src1_sel:DWORD
	v_fma_f16 v9, v196, v9, v13
	global_load_dword v13, v[89:90], off offset:40
	v_fma_f16 v12, v196, v12, -v14
	s_waitcnt vmcnt(16)
	v_lshrrev_b32_e32 v14, 16, v7
	v_pack_b32_f16 v8, v8, v11
	v_pack_b32_f16 v9, v9, v12
	ds_write_b32 v134, v9 offset:1372
	s_waitcnt vmcnt(15)
	v_mul_f16_sdwa v11, v17, v14 dst_sel:DWORD dst_unused:UNUSED_PAD src0_sel:WORD_1 src1_sel:DWORD
	v_fma_f16 v11, v17, v7, v11
	v_mul_f16_sdwa v7, v17, v7 dst_sel:DWORD dst_unused:UNUSED_PAD src0_sel:WORD_1 src1_sel:DWORD
	v_mov_b32_e32 v9, s13
	v_fma_f16 v7, v17, v14, -v7
	v_addc_co_u32_e32 v3, vcc, v3, v9, vcc
	v_pack_b32_f16 v7, v11, v7
	global_load_dword v9, v[2:3], off
	global_load_dword v207, v134, s[0:1] offset:2940
	global_load_dword v44, v134, s[0:1] offset:1568
	;; [unrolled: 1-line block ×7, first 2 shown]
	ds_write_b32 v134, v7 offset:2744
	s_waitcnt vmcnt(22)
	v_lshrrev_b32_e32 v7, 16, v5
	buffer_store_dword v17, off, s[20:23], 0 offset:172 ; 4-byte Folded Spill
	global_load_dword v37, v[0:1], off offset:216
	global_load_dword v42, v[0:1], off offset:412
	;; [unrolled: 1-line block ×6, first 2 shown]
	s_waitcnt vmcnt(28)
	v_mul_f16_sdwa v11, v199, v7 dst_sel:DWORD dst_unused:UNUSED_PAD src0_sel:WORD_1 src1_sel:DWORD
	v_fma_f16 v11, v199, v5, v11
	v_mul_f16_sdwa v5, v199, v5 dst_sel:DWORD dst_unused:UNUSED_PAD src0_sel:WORD_1 src1_sel:DWORD
	v_fma_f16 v5, v199, v7, -v5
	v_pack_b32_f16 v5, v11, v5
	ds_write_b32 v134, v5 offset:4116
	s_waitcnt vmcnt(27)
	v_lshrrev_b32_e32 v5, 16, v6
	s_waitcnt vmcnt(26)
	v_mul_f16_sdwa v7, v16, v5 dst_sel:DWORD dst_unused:UNUSED_PAD src0_sel:WORD_1 src1_sel:DWORD
	v_fma_f16 v7, v16, v6, v7
	v_mul_f16_sdwa v6, v16, v6 dst_sel:DWORD dst_unused:UNUSED_PAD src0_sel:WORD_1 src1_sel:DWORD
	v_fma_f16 v5, v16, v5, -v6
	v_pack_b32_f16 v5, v7, v5
	v_mov_b32_e32 v6, s6
	v_add_co_u32_e32 v2, vcc, s7, v2
	buffer_store_dword v16, off, s[20:23], 0 offset:168 ; 4-byte Folded Spill
	ds_write_b32 v134, v5 offset:5488
	v_addc_co_u32_e32 v3, vcc, v3, v6, vcc
	global_load_dword v6, v[2:3], off
	global_load_dword v49, v[0:1], off offset:2960
	global_load_dword v18, v[0:1], off offset:1588
	;; [unrolled: 1-line block ×7, first 2 shown]
	v_mov_b32_e32 v11, s6
	v_add_co_u32_e32 v2, vcc, s7, v2
	v_addc_co_u32_e32 v3, vcc, v3, v11, vcc
	global_load_dword v11, v[2:3], off
	s_waitcnt vmcnt(35)
	v_lshrrev_b32_e32 v5, 16, v4
	s_waitcnt vmcnt(28)
	v_mul_f16_sdwa v7, v195, v5 dst_sel:DWORD dst_unused:UNUSED_PAD src0_sel:WORD_1 src1_sel:DWORD
	v_fma_f16 v7, v195, v4, v7
	v_mul_f16_sdwa v4, v195, v4 dst_sel:DWORD dst_unused:UNUSED_PAD src0_sel:WORD_1 src1_sel:DWORD
	v_fma_f16 v4, v195, v5, -v4
	v_pack_b32_f16 v4, v7, v4
	v_mov_b32_e32 v5, s6
	v_add_co_u32_e32 v2, vcc, s7, v2
	ds_write_b32 v134, v4 offset:6860
	v_addc_co_u32_e32 v3, vcc, v3, v5, vcc
	global_load_dword v5, v[2:3], off
	global_load_dword v30, v[89:90], off offset:236
	global_load_dword v45, v[89:90], off offset:432
	;; [unrolled: 1-line block ×6, first 2 shown]
	v_mov_b32_e32 v12, s6
	v_add_co_u32_e32 v2, vcc, s7, v2
	v_addc_co_u32_e32 v3, vcc, v3, v12, vcc
	global_load_dword v12, v[2:3], off
	s_waitcnt vmcnt(35)
	v_lshrrev_b32_e32 v4, 16, v10
	v_add_co_u32_e32 v2, vcc, s7, v2
	v_mov_b32_e32 v14, s13
	v_mov_b32_e32 v17, v15
	;; [unrolled: 1-line block ×4, first 2 shown]
	global_load_dword v47, v134, s[0:1] offset:3136
	global_load_dword v46, v[0:1], off offset:3156
	s_waitcnt vmcnt(35)
	v_mul_f16_sdwa v7, v13, v4 dst_sel:DWORD dst_unused:UNUSED_PAD src0_sel:WORD_1 src1_sel:DWORD
	v_fma_f16 v7, v13, v10, v7
	v_mul_f16_sdwa v10, v13, v10 dst_sel:DWORD dst_unused:UNUSED_PAD src0_sel:WORD_1 src1_sel:DWORD
	v_fma_f16 v4, v13, v4, -v10
	v_mov_b32_e32 v10, s6
	v_addc_co_u32_e32 v3, vcc, v3, v10, vcc
	global_load_dword v10, v[2:3], off
	v_add_co_u32_e32 v2, vcc, s7, v2
	buffer_store_dword v13, off, s[20:23], 0 offset:164 ; 4-byte Folded Spill
	v_mov_b32_e32 v13, s6
	v_addc_co_u32_e32 v3, vcc, v3, v13, vcc
	global_load_dword v13, v[2:3], off
	v_add_co_u32_e32 v2, vcc, s12, v2
	v_addc_co_u32_e32 v3, vcc, v3, v14, vcc
	global_load_dword v14, v[2:3], off
	v_add_co_u32_e32 v2, vcc, s7, v2
	v_addc_co_u32_e32 v3, vcc, v3, v15, vcc
	global_load_dword v15, v[2:3], off
	v_pack_b32_f16 v4, v7, v4
	ds_write_b32 v134, v4 offset:8232
	s_waitcnt vmcnt(39)
	v_lshrrev_b32_e32 v4, 16, v9
	v_add_co_u32_e32 v2, vcc, s7, v2
	v_mul_f16_sdwa v7, v17, v4 dst_sel:DWORD dst_unused:UNUSED_PAD src0_sel:WORD_1 src1_sel:DWORD
	v_addc_co_u32_e32 v3, vcc, v3, v16, vcc
	v_fma_f16 v7, v17, v9, v7
	v_mul_f16_sdwa v9, v17, v9 dst_sel:DWORD dst_unused:UNUSED_PAD src0_sel:WORD_1 src1_sel:DWORD
	global_load_dword v16, v[2:3], off
	v_fma_f16 v4, v17, v4, -v9
	v_pack_b32_f16 v4, v7, v4
	ds_write2_b32 v134, v8, v4 offset1:49
	v_mov_b32_e32 v8, s6
	v_add_co_u32_e32 v2, vcc, s7, v2
	v_addc_co_u32_e32 v3, vcc, v3, v8, vcc
	global_load_dword v8, v[2:3], off
	s_waitcnt vmcnt(25)
	v_lshrrev_b32_e32 v4, 16, v6
	v_mul_f16_sdwa v7, v44, v4 dst_sel:DWORD dst_unused:UNUSED_PAD src0_sel:WORD_1 src1_sel:DWORD
	v_fma_f16 v7, v44, v6, v7
	v_mul_f16_sdwa v6, v44, v6 dst_sel:DWORD dst_unused:UNUSED_PAD src0_sel:WORD_1 src1_sel:DWORD
	v_fma_f16 v4, v44, v4, -v6
	s_waitcnt vmcnt(17)
	v_lshrrev_b32_e32 v6, 16, v11
	v_pack_b32_f16 v4, v7, v4
	v_mul_f16_sdwa v7, v207, v6 dst_sel:DWORD dst_unused:UNUSED_PAD src0_sel:WORD_1 src1_sel:DWORD
	v_fma_f16 v7, v207, v11, v7
	v_mul_f16_sdwa v9, v207, v11 dst_sel:DWORD dst_unused:UNUSED_PAD src0_sel:WORD_1 src1_sel:DWORD
	v_mov_b32_e32 v11, s6
	v_add_co_u32_e32 v2, vcc, s7, v2
	v_addc_co_u32_e32 v3, vcc, v3, v11, vcc
	global_load_dword v11, v[2:3], off
	v_fma_f16 v6, v207, v6, -v9
	v_pack_b32_f16 v6, v7, v6
	s_waitcnt vmcnt(17)
	v_lshrrev_b32_e32 v7, 16, v5
	v_mul_f16_sdwa v9, v37, v7 dst_sel:DWORD dst_unused:UNUSED_PAD src0_sel:WORD_1 src1_sel:DWORD
	v_fma_f16 v9, v37, v5, v9
	v_mul_f16_sdwa v5, v37, v5 dst_sel:DWORD dst_unused:UNUSED_PAD src0_sel:WORD_1 src1_sel:DWORD
	v_fma_f16 v5, v37, v7, -v5
	v_mov_b32_e32 v7, s6
	v_add_co_u32_e32 v2, vcc, s7, v2
	v_addc_co_u32_e32 v3, vcc, v3, v7, vcc
	global_load_dword v7, v[2:3], off
	v_pack_b32_f16 v5, v9, v5
	s_waitcnt vmcnt(11)
	v_lshrrev_b32_e32 v9, 16, v12
	buffer_store_dword v17, off, s[20:23], 0 offset:160 ; 4-byte Folded Spill
	v_mul_f16_sdwa v17, v18, v9 dst_sel:DWORD dst_unused:UNUSED_PAD src0_sel:WORD_1 src1_sel:DWORD
	v_fma_f16 v17, v18, v12, v17
	v_mul_f16_sdwa v12, v18, v12 dst_sel:DWORD dst_unused:UNUSED_PAD src0_sel:WORD_1 src1_sel:DWORD
	v_fma_f16 v9, v18, v9, -v12
	v_mov_b32_e32 v12, s6
	v_add_co_u32_e32 v2, vcc, s7, v2
	v_addc_co_u32_e32 v3, vcc, v3, v12, vcc
	global_load_dword v12, v[2:3], off
	v_pack_b32_f16 v9, v17, v9
	s_waitcnt vmcnt(10)
	v_lshrrev_b32_e32 v17, 16, v10
	buffer_store_dword v18, off, s[20:23], 0 offset:140 ; 4-byte Folded Spill
	v_mul_f16_sdwa v18, v49, v17 dst_sel:DWORD dst_unused:UNUSED_PAD src0_sel:WORD_1 src1_sel:DWORD
	v_fma_f16 v18, v49, v10, v18
	v_mul_f16_sdwa v10, v49, v10 dst_sel:DWORD dst_unused:UNUSED_PAD src0_sel:WORD_1 src1_sel:DWORD
	v_fma_f16 v10, v49, v17, -v10
	s_waitcnt vmcnt(9)
	v_lshrrev_b32_e32 v17, 16, v13
	v_pack_b32_f16 v10, v18, v10
	v_mul_f16_sdwa v18, v30, v17 dst_sel:DWORD dst_unused:UNUSED_PAD src0_sel:WORD_1 src1_sel:DWORD
	v_fma_f16 v18, v30, v13, v18
	v_mul_f16_sdwa v13, v30, v13 dst_sel:DWORD dst_unused:UNUSED_PAD src0_sel:WORD_1 src1_sel:DWORD
	v_fma_f16 v13, v30, v17, -v13
	s_waitcnt vmcnt(8)
	v_lshrrev_b32_e32 v17, 16, v14
	v_pack_b32_f16 v13, v18, v13
	;; [unrolled: 7-line block ×3, first 2 shown]
	v_mul_f16_sdwa v18, v48, v17 dst_sel:DWORD dst_unused:UNUSED_PAD src0_sel:WORD_1 src1_sel:DWORD
	v_fma_f16 v18, v48, v15, v18
	v_mul_f16_sdwa v15, v48, v15 dst_sel:DWORD dst_unused:UNUSED_PAD src0_sel:WORD_1 src1_sel:DWORD
	v_fma_f16 v15, v48, v17, -v15
	v_pack_b32_f16 v15, v18, v15
	ds_write2_b32 v194, v4, v15 offset0:136 offset1:185
	buffer_store_dword v44, off, s[20:23], 0 offset:148 ; 4-byte Folded Spill
	s_waitcnt vmcnt(7)
	v_lshrrev_b32_e32 v4, 16, v16
	v_mul_f16_sdwa v15, v47, v4 dst_sel:DWORD dst_unused:UNUSED_PAD src0_sel:WORD_1 src1_sel:DWORD
	v_fma_f16 v15, v47, v16, v15
	v_mul_f16_sdwa v16, v47, v16 dst_sel:DWORD dst_unused:UNUSED_PAD src0_sel:WORD_1 src1_sel:DWORD
	v_fma_f16 v4, v47, v4, -v16
	buffer_store_dword v37, off, s[20:23], 0 offset:144 ; 4-byte Folded Spill
	buffer_store_dword v49, off, s[20:23], 0 offset:236 ; 4-byte Folded Spill
	;; [unrolled: 1-line block ×5, first 2 shown]
	v_pack_b32_f16 v4, v15, v4
	v_add_u32_e32 v15, 0xa00, v134
	global_load_dword v44, v134, s[0:1] offset:3332
	global_load_dword v37, v134, s[0:1] offset:3528
	;; [unrolled: 1-line block ×4, first 2 shown]
	ds_write2_b32 v15, v6, v4 offset0:95 offset1:144
	s_waitcnt vmcnt(15)
	v_lshrrev_b32_e32 v4, 16, v8
	v_mul_f16_sdwa v6, v42, v4 dst_sel:DWORD dst_unused:UNUSED_PAD src0_sel:WORD_1 src1_sel:DWORD
	v_fma_f16 v6, v42, v8, v6
	v_mul_f16_sdwa v8, v42, v8 dst_sel:DWORD dst_unused:UNUSED_PAD src0_sel:WORD_1 src1_sel:DWORD
	v_fma_f16 v4, v42, v4, -v8
	v_mov_b32_e32 v8, s13
	v_add_co_u32_e32 v2, vcc, s12, v2
	v_addc_co_u32_e32 v3, vcc, v3, v8, vcc
	global_load_dword v8, v[2:3], off
	v_pack_b32_f16 v4, v6, v4
	ds_write2_b32 v187, v5, v4 offset0:54 offset1:103
	s_waitcnt vmcnt(15)
	v_lshrrev_b32_e32 v4, 16, v11
	v_mul_f16_sdwa v5, v34, v4 dst_sel:DWORD dst_unused:UNUSED_PAD src0_sel:WORD_1 src1_sel:DWORD
	v_fma_f16 v5, v34, v11, v5
	v_mul_f16_sdwa v6, v34, v11 dst_sel:DWORD dst_unused:UNUSED_PAD src0_sel:WORD_1 src1_sel:DWORD
	v_mov_b32_e32 v11, s6
	v_add_co_u32_e32 v2, vcc, s7, v2
	v_addc_co_u32_e32 v3, vcc, v3, v11, vcc
	global_load_dword v11, v[2:3], off
	v_fma_f16 v4, v34, v4, -v6
	v_pack_b32_f16 v4, v5, v4
	buffer_store_dword v47, off, s[20:23], 0 offset:128 ; 4-byte Folded Spill
	buffer_store_dword v42, off, s[20:23], 0 offset:124 ; 4-byte Folded Spill
	;; [unrolled: 1-line block ×3, first 2 shown]
	ds_write2_b32 v188, v9, v4 offset0:141 offset1:190
	s_waitcnt vmcnt(18)
	v_lshrrev_b32_e32 v4, 16, v7
	global_load_dword v42, v[0:1], off offset:3352
	global_load_dword v34, v[0:1], off offset:3548
	;; [unrolled: 1-line block ×4, first 2 shown]
	v_mul_f16_sdwa v0, v46, v4 dst_sel:DWORD dst_unused:UNUSED_PAD src0_sel:WORD_1 src1_sel:DWORD
	v_mul_f16_sdwa v1, v46, v7 dst_sel:DWORD dst_unused:UNUSED_PAD src0_sel:WORD_1 src1_sel:DWORD
	v_fma_f16 v0, v46, v7, v0
	v_fma_f16 v1, v46, v4, -v1
	v_pack_b32_f16 v0, v0, v1
	ds_write2_b32 v189, v10, v0 offset0:100 offset1:149
	v_mov_b32_e32 v1, s6
	v_add_co_u32_e32 v0, vcc, s7, v2
	v_addc_co_u32_e32 v1, vcc, v3, v1, vcc
	s_waitcnt vmcnt(20)
	v_lshrrev_b32_e32 v4, 16, v12
	global_load_dword v2, v[0:1], off
	v_mul_f16_sdwa v5, v45, v4 dst_sel:DWORD dst_unused:UNUSED_PAD src0_sel:WORD_1 src1_sel:DWORD
	v_mov_b32_e32 v3, s6
	v_add_co_u32_e32 v0, vcc, s7, v0
	v_mul_f16_sdwa v6, v45, v12 dst_sel:DWORD dst_unused:UNUSED_PAD src0_sel:WORD_1 src1_sel:DWORD
	v_addc_co_u32_e32 v1, vcc, v1, v3, vcc
	v_fma_f16 v5, v45, v12, v5
	v_fma_f16 v4, v45, v4, -v6
	global_load_dword v3, v[0:1], off
	v_pack_b32_f16 v4, v5, v4
	ds_write2_b32 v183, v13, v4 offset0:59 offset1:108
	v_mov_b32_e32 v4, s6
	v_add_co_u32_e32 v0, vcc, s7, v0
	v_addc_co_u32_e32 v1, vcc, v1, v4, vcc
	global_load_dword v4, v[0:1], off
	v_mov_b32_e32 v5, s6
	v_add_co_u32_e32 v0, vcc, s7, v0
	v_addc_co_u32_e32 v1, vcc, v1, v5, vcc
	global_load_dword v5, v[0:1], off
	;; [unrolled: 4-line block ×5, first 2 shown]
	v_mov_b32_e32 v13, s6
	v_add_co_u32_e32 v0, vcc, s7, v0
	v_addc_co_u32_e32 v1, vcc, v1, v13, vcc
	s_waitcnt vmcnt(15)
	v_lshrrev_b32_e32 v10, 16, v8
	v_mul_f16_sdwa v12, v40, v10 dst_sel:DWORD dst_unused:UNUSED_PAD src0_sel:WORD_1 src1_sel:DWORD
	global_load_dword v13, v[0:1], off
	v_fma_f16 v12, v40, v8, v12
	v_mul_f16_sdwa v8, v40, v8 dst_sel:DWORD dst_unused:UNUSED_PAD src0_sel:WORD_1 src1_sel:DWORD
	v_fma_f16 v8, v40, v10, -v8
	v_pack_b32_f16 v8, v12, v8
	v_mov_b32_e32 v12, s6
	v_add_co_u32_e32 v0, vcc, s7, v0
	v_addc_co_u32_e32 v1, vcc, v1, v12, vcc
	global_load_dword v12, v[0:1], off
	ds_write2_b32 v134, v14, v8 offset0:98 offset1:147
	s_waitcnt vmcnt(16)
	v_lshrrev_b32_e32 v8, 16, v11
	v_mov_b32_e32 v14, s6
	v_add_co_u32_e32 v0, vcc, s7, v0
	v_mul_f16_sdwa v10, v43, v8 dst_sel:DWORD dst_unused:UNUSED_PAD src0_sel:WORD_1 src1_sel:DWORD
	v_addc_co_u32_e32 v1, vcc, v1, v14, vcc
	v_fma_f16 v10, v43, v11, v10
	v_mul_f16_sdwa v11, v43, v11 dst_sel:DWORD dst_unused:UNUSED_PAD src0_sel:WORD_1 src1_sel:DWORD
	global_load_dword v14, v[0:1], off
	v_fma_f16 v8, v43, v8, -v11
	v_pack_b32_f16 v8, v10, v8
	v_mov_b32_e32 v10, s6
	v_add_co_u32_e32 v0, vcc, s7, v0
	v_addc_co_u32_e32 v1, vcc, v1, v10, vcc
	global_load_dword v10, v[0:1], off
	v_mov_b32_e32 v16, s6
	v_add_co_u32_e32 v0, vcc, s7, v0
	v_addc_co_u32_e32 v1, vcc, v1, v16, vcc
	global_load_dword v16, v[0:1], off
	s_waitcnt vmcnt(11)
	v_lshrrev_b32_e32 v11, 16, v2
	v_mul_f16_sdwa v15, v44, v11 dst_sel:DWORD dst_unused:UNUSED_PAD src0_sel:WORD_1 src1_sel:DWORD
	v_fma_f16 v15, v44, v2, v15
	v_mul_f16_sdwa v2, v44, v2 dst_sel:DWORD dst_unused:UNUSED_PAD src0_sel:WORD_1 src1_sel:DWORD
	v_fma_f16 v2, v44, v11, -v2
	s_waitcnt vmcnt(10)
	v_lshrrev_b32_e32 v11, 16, v3
	v_pack_b32_f16 v2, v15, v2
	v_mul_f16_sdwa v15, v41, v11 dst_sel:DWORD dst_unused:UNUSED_PAD src0_sel:WORD_1 src1_sel:DWORD
	v_fma_f16 v15, v41, v3, v15
	v_mul_f16_sdwa v3, v41, v3 dst_sel:DWORD dst_unused:UNUSED_PAD src0_sel:WORD_1 src1_sel:DWORD
	v_fma_f16 v3, v41, v11, -v3
	v_pack_b32_f16 v3, v15, v3
	s_waitcnt vmcnt(9)
	v_lshrrev_b32_e32 v11, 16, v4
	v_mul_f16_sdwa v15, v39, v11 dst_sel:DWORD dst_unused:UNUSED_PAD src0_sel:WORD_1 src1_sel:DWORD
	v_fma_f16 v15, v39, v4, v15
	v_mul_f16_sdwa v4, v39, v4 dst_sel:DWORD dst_unused:UNUSED_PAD src0_sel:WORD_1 src1_sel:DWORD
	v_fma_f16 v4, v39, v11, -v4
	v_pack_b32_f16 v4, v15, v4
	s_waitcnt vmcnt(8)
	v_lshrrev_b32_e32 v11, 16, v5
	;; [unrolled: 7-line block ×5, first 2 shown]
	v_mul_f16_sdwa v15, v36, v11 dst_sel:DWORD dst_unused:UNUSED_PAD src0_sel:WORD_1 src1_sel:DWORD
	v_fma_f16 v15, v36, v9, v15
	v_mul_f16_sdwa v9, v36, v9 dst_sel:DWORD dst_unused:UNUSED_PAD src0_sel:WORD_1 src1_sel:DWORD
	v_fma_f16 v9, v36, v11, -v9
	v_pack_b32_f16 v9, v15, v9
	v_add_u32_e32 v11, 0x600, v134
	ds_write2_b32 v11, v8, v9 offset0:106 offset1:155
	v_mov_b32_e32 v9, s13
	v_add_co_u32_e32 v0, vcc, s12, v0
	v_addc_co_u32_e32 v1, vcc, v1, v9, vcc
	global_load_dword v9, v[0:1], off
	s_waitcnt vmcnt(5)
	v_lshrrev_b32_e32 v8, 16, v13
	v_mov_b32_e32 v137, v11
	v_mul_f16_sdwa v11, v37, v8 dst_sel:DWORD dst_unused:UNUSED_PAD src0_sel:WORD_1 src1_sel:DWORD
	v_fma_f16 v11, v37, v13, v11
	v_mul_f16_sdwa v13, v37, v13 dst_sel:DWORD dst_unused:UNUSED_PAD src0_sel:WORD_1 src1_sel:DWORD
	v_fma_f16 v8, v37, v8, -v13
	v_pack_b32_f16 v8, v11, v8
	ds_write2_b32 v184, v2, v8 offset0:65 offset1:114
	s_waitcnt vmcnt(4)
	v_lshrrev_b32_e32 v2, 16, v12
	v_mul_f16_sdwa v8, v33, v2 dst_sel:DWORD dst_unused:UNUSED_PAD src0_sel:WORD_1 src1_sel:DWORD
	v_mul_f16_sdwa v11, v33, v12 dst_sel:DWORD dst_unused:UNUSED_PAD src0_sel:WORD_1 src1_sel:DWORD
	v_fma_f16 v8, v33, v12, v8
	v_fma_f16 v2, v33, v2, -v11
	v_pack_b32_f16 v2, v8, v2
	ds_write2_b32 v187, v3, v2 offset0:152 offset1:201
	s_waitcnt vmcnt(3)
	v_lshrrev_b32_e32 v2, 16, v14
	v_mul_f16_sdwa v3, v32, v2 dst_sel:DWORD dst_unused:UNUSED_PAD src0_sel:WORD_1 src1_sel:DWORD
	v_mul_f16_sdwa v8, v32, v14 dst_sel:DWORD dst_unused:UNUSED_PAD src0_sel:WORD_1 src1_sel:DWORD
	v_fma_f16 v3, v32, v14, v3
	v_fma_f16 v2, v32, v2, -v8
	v_pack_b32_f16 v2, v3, v2
	v_add_u32_e32 v3, 0x1600, v134
	ds_write2_b32 v3, v4, v2 offset0:111 offset1:160
	s_waitcnt vmcnt(2)
	v_lshrrev_b32_e32 v2, 16, v10
	v_mul_f16_sdwa v3, v34, v2 dst_sel:DWORD dst_unused:UNUSED_PAD src0_sel:WORD_1 src1_sel:DWORD
	v_mul_f16_sdwa v8, v34, v10 dst_sel:DWORD dst_unused:UNUSED_PAD src0_sel:WORD_1 src1_sel:DWORD
	v_fma_f16 v3, v34, v10, v3
	v_fma_f16 v2, v34, v2, -v8
	v_pack_b32_f16 v2, v3, v2
	v_mov_b32_e32 v4, s6
	v_add_co_u32_e32 v0, vcc, s7, v0
	ds_write2_b32 v182, v5, v2 offset0:70 offset1:119
	s_waitcnt vmcnt(1)
	v_lshrrev_b32_e32 v2, 16, v16
	v_addc_co_u32_e32 v1, vcc, v1, v4, vcc
	v_mul_f16_sdwa v3, v31, v2 dst_sel:DWORD dst_unused:UNUSED_PAD src0_sel:WORD_1 src1_sel:DWORD
	v_mul_f16_sdwa v5, v31, v16 dst_sel:DWORD dst_unused:UNUSED_PAD src0_sel:WORD_1 src1_sel:DWORD
	global_load_dword v4, v[0:1], off
	v_fma_f16 v3, v31, v16, v3
	v_fma_f16 v2, v31, v2, -v5
	v_pack_b32_f16 v2, v3, v2
	ds_write2_b32 v183, v6, v2 offset0:157 offset1:206
	v_mov_b32_e32 v2, s6
	v_add_co_u32_e32 v0, vcc, s7, v0
	v_addc_co_u32_e32 v1, vcc, v1, v2, vcc
	global_load_dword v2, v[0:1], off
	v_mov_b32_e32 v3, s6
	v_add_co_u32_e32 v0, vcc, s7, v0
	v_addc_co_u32_e32 v1, vcc, v1, v3, vcc
	global_load_dword v3, v[0:1], off
	;; [unrolled: 4-line block ×8, first 2 shown]
	v_mov_b32_e32 v15, s6
	v_add_co_u32_e32 v0, vcc, s7, v0
	s_waitcnt vmcnt(9)
	v_lshrrev_b32_e32 v11, 16, v9
	v_addc_co_u32_e32 v1, vcc, v1, v15, vcc
	v_mul_f16_sdwa v13, v28, v11 dst_sel:DWORD dst_unused:UNUSED_PAD src0_sel:WORD_1 src1_sel:DWORD
	global_load_dword v15, v[0:1], off
	v_fma_f16 v13, v28, v9, v13
	v_mul_f16_sdwa v9, v28, v9 dst_sel:DWORD dst_unused:UNUSED_PAD src0_sel:WORD_1 src1_sel:DWORD
	v_fma_f16 v9, v28, v11, -v9
	v_mov_b32_e32 v11, s6
	v_add_co_u32_e32 v0, vcc, s7, v0
	v_addc_co_u32_e32 v1, vcc, v1, v11, vcc
	global_load_dword v11, v[0:1], off
	v_pack_b32_f16 v9, v13, v9
	ds_write2_b32 v134, v7, v9 offset0:196 offset1:245
	v_mov_b32_e32 v9, s6
	v_add_co_u32_e32 v0, vcc, s7, v0
	v_addc_co_u32_e32 v1, vcc, v1, v9, vcc
	global_load_dword v9, v[0:1], off
	v_mov_b32_e32 v16, s6
	v_add_co_u32_e32 v0, vcc, s7, v0
	v_addc_co_u32_e32 v1, vcc, v1, v16, vcc
	global_load_dword v0, v[0:1], off
	s_waitcnt vmcnt(12)
	v_lshrrev_b32_e32 v7, 16, v4
	v_mul_f16_sdwa v13, v29, v7 dst_sel:DWORD dst_unused:UNUSED_PAD src0_sel:WORD_1 src1_sel:DWORD
	v_fma_f16 v1, v29, v4, v13
	v_mul_f16_sdwa v4, v29, v4 dst_sel:DWORD dst_unused:UNUSED_PAD src0_sel:WORD_1 src1_sel:DWORD
	v_fma_f16 v4, v29, v7, -v4
	v_pack_b32_f16 v1, v1, v4
	s_waitcnt vmcnt(11)
	v_lshrrev_b32_e32 v4, 16, v2
	v_mul_f16_sdwa v7, v30, v4 dst_sel:DWORD dst_unused:UNUSED_PAD src0_sel:WORD_1 src1_sel:DWORD
	v_fma_f16 v7, v30, v2, v7
	v_mul_f16_sdwa v2, v30, v2 dst_sel:DWORD dst_unused:UNUSED_PAD src0_sel:WORD_1 src1_sel:DWORD
	v_fma_f16 v2, v30, v4, -v2
	v_pack_b32_f16 v2, v7, v2
	;; [unrolled: 7-line block ×7, first 2 shown]
	ds_write_b32 v134, v7 offset:1176
	s_waitcnt vmcnt(5)
	v_lshrrev_b32_e32 v7, 16, v12
	v_mul_f16_sdwa v8, v22, v7 dst_sel:DWORD dst_unused:UNUSED_PAD src0_sel:WORD_1 src1_sel:DWORD
	v_mul_f16_sdwa v10, v22, v12 dst_sel:DWORD dst_unused:UNUSED_PAD src0_sel:WORD_1 src1_sel:DWORD
	v_fma_f16 v8, v22, v12, v8
	v_fma_f16 v7, v22, v7, -v10
	v_pack_b32_f16 v7, v8, v7
	ds_write2_b32 v185, v1, v7 offset0:76 offset1:125
	s_waitcnt vmcnt(4)
	v_lshrrev_b32_e32 v1, 16, v14
	v_mul_f16_sdwa v7, v18, v1 dst_sel:DWORD dst_unused:UNUSED_PAD src0_sel:WORD_1 src1_sel:DWORD
	v_mul_f16_sdwa v8, v18, v14 dst_sel:DWORD dst_unused:UNUSED_PAD src0_sel:WORD_1 src1_sel:DWORD
	v_fma_f16 v7, v18, v14, v7
	v_fma_f16 v1, v18, v1, -v8
	v_pack_b32_f16 v1, v7, v1
	ds_write2_b32 v184, v2, v1 offset0:163 offset1:212
	s_waitcnt vmcnt(3)
	v_lshrrev_b32_e32 v1, 16, v15
	v_mul_f16_sdwa v2, v21, v1 dst_sel:DWORD dst_unused:UNUSED_PAD src0_sel:WORD_1 src1_sel:DWORD
	v_mul_f16_sdwa v7, v21, v15 dst_sel:DWORD dst_unused:UNUSED_PAD src0_sel:WORD_1 src1_sel:DWORD
	v_fma_f16 v2, v21, v15, v2
	v_fma_f16 v1, v21, v1, -v7
	v_pack_b32_f16 v1, v2, v1
	v_add_u32_e32 v2, 0x1200, v134
	ds_write2_b32 v2, v3, v1 offset0:122 offset1:171
	s_waitcnt vmcnt(2)
	v_lshrrev_b32_e32 v1, 16, v11
	v_mov_b32_e32 v213, v2
	v_mul_f16_sdwa v2, v20, v1 dst_sel:DWORD dst_unused:UNUSED_PAD src0_sel:WORD_1 src1_sel:DWORD
	v_mul_f16_sdwa v3, v20, v11 dst_sel:DWORD dst_unused:UNUSED_PAD src0_sel:WORD_1 src1_sel:DWORD
	v_fma_f16 v2, v20, v11, v2
	v_fma_f16 v1, v20, v1, -v3
	v_pack_b32_f16 v1, v2, v1
	ds_write2_b32 v186, v4, v1 offset0:81 offset1:130
	s_waitcnt vmcnt(1)
	v_lshrrev_b32_e32 v1, 16, v9
	v_mul_f16_sdwa v2, v17, v1 dst_sel:DWORD dst_unused:UNUSED_PAD src0_sel:WORD_1 src1_sel:DWORD
	v_mul_f16_sdwa v3, v17, v9 dst_sel:DWORD dst_unused:UNUSED_PAD src0_sel:WORD_1 src1_sel:DWORD
	v_fma_f16 v2, v17, v9, v2
	v_fma_f16 v1, v17, v1, -v3
	v_pack_b32_f16 v1, v2, v1
	ds_write2_b32 v182, v5, v1 offset0:168 offset1:217
	s_waitcnt vmcnt(0)
	v_lshrrev_b32_e32 v1, 16, v0
	v_mul_f16_sdwa v2, v19, v1 dst_sel:DWORD dst_unused:UNUSED_PAD src0_sel:WORD_1 src1_sel:DWORD
	v_fma_f16 v2, v19, v0, v2
	v_mul_f16_sdwa v0, v19, v0 dst_sel:DWORD dst_unused:UNUSED_PAD src0_sel:WORD_1 src1_sel:DWORD
	v_fma_f16 v0, v19, v1, -v0
	v_pack_b32_f16 v0, v2, v0
	v_add_u32_e32 v1, 0x2200, v134
	ds_write2_b32 v1, v6, v0 offset0:127 offset1:176
	v_add_u32_e32 v0, 0xe00, v134
	buffer_store_dword v46, off, s[20:23], 0 offset:116 ; 4-byte Folded Spill
	buffer_store_dword v45, off, s[20:23], 0 offset:112 ; 4-byte Folded Spill
	buffer_store_dword v40, off, s[20:23], 0 offset:108 ; 4-byte Folded Spill
	buffer_store_dword v43, off, s[20:23], 0 offset:104 ; 4-byte Folded Spill
	buffer_store_dword v44, off, s[20:23], 0 offset:100 ; 4-byte Folded Spill
	buffer_store_dword v41, off, s[20:23], 0 offset:96 ; 4-byte Folded Spill
	buffer_store_dword v39, off, s[20:23], 0 offset:92 ; 4-byte Folded Spill
	buffer_store_dword v42, off, s[20:23], 0 offset:88 ; 4-byte Folded Spill
	buffer_store_dword v38, off, s[20:23], 0 offset:84 ; 4-byte Folded Spill
	buffer_store_dword v35, off, s[20:23], 0 offset:80 ; 4-byte Folded Spill
	buffer_store_dword v36, off, s[20:23], 0 offset:76 ; 4-byte Folded Spill
	buffer_store_dword v37, off, s[20:23], 0 offset:72 ; 4-byte Folded Spill
	buffer_store_dword v33, off, s[20:23], 0 offset:68 ; 4-byte Folded Spill
	buffer_store_dword v32, off, s[20:23], 0 offset:64 ; 4-byte Folded Spill
	buffer_store_dword v34, off, s[20:23], 0 offset:60 ; 4-byte Folded Spill
	buffer_store_dword v31, off, s[20:23], 0 offset:56 ; 4-byte Folded Spill
	buffer_store_dword v28, off, s[20:23], 0 offset:52 ; 4-byte Folded Spill
	buffer_store_dword v29, off, s[20:23], 0 offset:48 ; 4-byte Folded Spill
	buffer_store_dword v30, off, s[20:23], 0 offset:44 ; 4-byte Folded Spill
	buffer_store_dword v26, off, s[20:23], 0 offset:40 ; 4-byte Folded Spill
	buffer_store_dword v25, off, s[20:23], 0 offset:36 ; 4-byte Folded Spill
	buffer_store_dword v27, off, s[20:23], 0 offset:32 ; 4-byte Folded Spill
	buffer_store_dword v24, off, s[20:23], 0 offset:28 ; 4-byte Folded Spill
	buffer_store_dword v23, off, s[20:23], 0 offset:24 ; 4-byte Folded Spill
	buffer_store_dword v22, off, s[20:23], 0 offset:20 ; 4-byte Folded Spill
	buffer_store_dword v18, off, s[20:23], 0 offset:16 ; 4-byte Folded Spill
	buffer_store_dword v21, off, s[20:23], 0 offset:12 ; 4-byte Folded Spill
	buffer_store_dword v20, off, s[20:23], 0 offset:8 ; 4-byte Folded Spill
	buffer_store_dword v17, off, s[20:23], 0 offset:4 ; 4-byte Folded Spill
	buffer_store_dword v19, off, s[20:23], 0 ; 4-byte Folded Spill
	s_waitcnt lgkmcnt(0)
	; wave barrier
	s_waitcnt lgkmcnt(0)
	ds_read2_b32 v[10:11], v185 offset0:174 offset1:223
	ds_read2_b32 v[2:3], v0 offset0:84 offset1:133
	v_mov_b32_e32 v128, v0
	ds_read2_b32 v[12:13], v188 offset0:92 offset1:141
	ds_read2_b32 v[0:1], v186 offset0:130 offset1:179
	;; [unrolled: 1-line block ×9, first 2 shown]
	s_waitcnt lgkmcnt(6)
	v_add_f16_e32 v54, v4, v13
	v_add_f16_e32 v61, v10, v1
	v_add_f16_sdwa v58, v10, v1 dst_sel:DWORD dst_unused:UNUSED_PAD src0_sel:WORD_1 src1_sel:WORD_1
	v_sub_f16_e32 v56, v10, v1
	v_sub_f16_sdwa v55, v10, v1 dst_sel:DWORD dst_unused:UNUSED_PAD src0_sel:WORD_1 src1_sel:WORD_1
	s_waitcnt lgkmcnt(5)
	v_add_f16_e32 v53, v11, v14
	v_add_f16_sdwa v49, v11, v14 dst_sel:DWORD dst_unused:UNUSED_PAD src0_sel:WORD_1 src1_sel:WORD_1
	v_sub_f16_e32 v44, v11, v14
	v_sub_f16_sdwa v41, v11, v14 dst_sel:DWORD dst_unused:UNUSED_PAD src0_sel:WORD_1 src1_sel:WORD_1
	v_add_f16_sdwa v52, v4, v13 dst_sel:DWORD dst_unused:UNUSED_PAD src0_sel:WORD_1 src1_sel:WORD_1
	v_sub_f16_e32 v51, v13, v4
	v_sub_f16_sdwa v46, v13, v4 dst_sel:DWORD dst_unused:UNUSED_PAD src0_sel:WORD_1 src1_sel:WORD_1
	s_waitcnt lgkmcnt(4)
	v_add_f16_e32 v50, v16, v15
	v_add_f16_sdwa v45, v16, v15 dst_sel:DWORD dst_unused:UNUSED_PAD src0_sel:WORD_1 src1_sel:WORD_1
	v_sub_f16_e32 v42, v16, v15
	v_sub_f16_sdwa v38, v16, v15 dst_sel:DWORD dst_unused:UNUSED_PAD src0_sel:WORD_1 src1_sel:WORD_1
	s_waitcnt lgkmcnt(2)
	v_add_f16_e32 v43, v17, v18
	;; [unrolled: 5-line block ×3, first 2 shown]
	v_add_f16_sdwa v13, v21, v8 dst_sel:DWORD dst_unused:UNUSED_PAD src0_sel:WORD_1 src1_sel:WORD_1
	v_sub_f16_e32 v11, v21, v8
	v_sub_f16_sdwa v4, v21, v8 dst_sel:DWORD dst_unused:UNUSED_PAD src0_sel:WORD_1 src1_sel:WORD_1
	v_add_f16_e32 v18, v2, v9
	v_add_f16_sdwa v17, v2, v9 dst_sel:DWORD dst_unused:UNUSED_PAD src0_sel:WORD_1 src1_sel:WORD_1
	v_sub_f16_e32 v16, v2, v9
	v_sub_f16_sdwa v8, v2, v9 dst_sel:DWORD dst_unused:UNUSED_PAD src0_sel:WORD_1 src1_sel:WORD_1
	ds_read2_b32 v[1:2], v187 offset0:152 offset1:201
	v_add_f16_e32 v67, v5, v6
	v_add_f16_sdwa v68, v5, v6 dst_sel:DWORD dst_unused:UNUSED_PAD src0_sel:WORD_1 src1_sel:WORD_1
	v_sub_f16_e32 v69, v6, v5
	v_sub_f16_sdwa v70, v6, v5 dst_sel:DWORD dst_unused:UNUSED_PAD src0_sel:WORD_1 src1_sel:WORD_1
	ds_read2_b32 v[5:6], v186 offset0:32 offset1:81
	v_add_f16_e32 v62, v3, v12
	v_add_f16_sdwa v60, v3, v12 dst_sel:DWORD dst_unused:UNUSED_PAD src0_sel:WORD_1 src1_sel:WORD_1
	v_sub_f16_e32 v59, v12, v3
	v_sub_f16_sdwa v57, v12, v3 dst_sel:DWORD dst_unused:UNUSED_PAD src0_sel:WORD_1 src1_sel:WORD_1
	v_add_f16_e32 v14, v20, v19
	v_add_f16_sdwa v12, v20, v19 dst_sel:DWORD dst_unused:UNUSED_PAD src0_sel:WORD_1 src1_sel:WORD_1
	v_sub_f16_e32 v10, v20, v19
	v_sub_f16_sdwa v3, v20, v19 dst_sel:DWORD dst_unused:UNUSED_PAD src0_sel:WORD_1 src1_sel:WORD_1
	s_waitcnt lgkmcnt(1)
	v_add_f16_e32 v71, v1, v7
	v_add_f16_sdwa v72, v1, v7 dst_sel:DWORD dst_unused:UNUSED_PAD src0_sel:WORD_1 src1_sel:WORD_1
	v_sub_f16_e32 v73, v7, v1
	v_sub_f16_sdwa v74, v7, v1 dst_sel:DWORD dst_unused:UNUSED_PAD src0_sel:WORD_1 src1_sel:WORD_1
	ds_read2_b32 v[20:21], v213 offset0:122 offset1:171
	s_waitcnt lgkmcnt(1)
	v_add_f16_e32 v34, v2, v5
	v_add_f16_sdwa v33, v2, v5 dst_sel:DWORD dst_unused:UNUSED_PAD src0_sel:WORD_1 src1_sel:WORD_1
	v_sub_f16_e32 v32, v5, v2
	v_sub_f16_sdwa v31, v5, v2 dst_sel:DWORD dst_unused:UNUSED_PAD src0_sel:WORD_1 src1_sel:WORD_1
	ds_read_b32 v7, v134 offset:9408
	ds_read2_b32 v[1:2], v185 offset0:76 offset1:125
	ds_read2_b32 v[63:64], v183 offset0:206 offset1:255
	;; [unrolled: 1-line block ×3, first 2 shown]
	s_waitcnt lgkmcnt(4)
	v_add_f16_e32 v26, v20, v6
	v_add_f16_sdwa v25, v20, v6 dst_sel:DWORD dst_unused:UNUSED_PAD src0_sel:WORD_1 src1_sel:WORD_1
	v_sub_f16_e32 v24, v6, v20
	v_sub_f16_sdwa v23, v6, v20 dst_sel:DWORD dst_unused:UNUSED_PAD src0_sel:WORD_1 src1_sel:WORD_1
	v_add_f16_e32 v20, v21, v0
	v_add_f16_sdwa v9, v21, v0 dst_sel:DWORD dst_unused:UNUSED_PAD src0_sel:WORD_1 src1_sel:WORD_1
	v_sub_f16_e32 v6, v0, v21
	v_sub_f16_sdwa v5, v0, v21 dst_sel:DWORD dst_unused:UNUSED_PAD src0_sel:WORD_1 src1_sel:WORD_1
	s_waitcnt lgkmcnt(1)
	v_add_f16_e32 v30, v1, v64
	v_add_f16_sdwa v29, v1, v64 dst_sel:DWORD dst_unused:UNUSED_PAD src0_sel:WORD_1 src1_sel:WORD_1
	v_sub_f16_e32 v28, v1, v64
	v_sub_f16_sdwa v27, v1, v64 dst_sel:DWORD dst_unused:UNUSED_PAD src0_sel:WORD_1 src1_sel:WORD_1
	s_waitcnt lgkmcnt(0)
	v_add_f16_e32 v47, v66, v63
	ds_read2_b32 v[0:1], v183 offset0:108 offset1:157
	v_add_f16_sdwa v48, v66, v63 dst_sel:DWORD dst_unused:UNUSED_PAD src0_sel:WORD_1 src1_sel:WORD_1
	v_sub_f16_e32 v40, v66, v63
	v_sub_f16_sdwa v37, v66, v63 dst_sel:DWORD dst_unused:UNUSED_PAD src0_sel:WORD_1 src1_sel:WORD_1
	ds_read2_b32 v[63:64], v194 offset0:136 offset1:185
	s_waitcnt lgkmcnt(1)
	v_add_f16_e32 v75, v65, v1
	v_add_f16_sdwa v76, v65, v1 dst_sel:DWORD dst_unused:UNUSED_PAD src0_sel:WORD_1 src1_sel:WORD_1
	v_sub_f16_e32 v77, v65, v1
	v_sub_f16_sdwa v78, v65, v1 dst_sel:DWORD dst_unused:UNUSED_PAD src0_sel:WORD_1 src1_sel:WORD_1
	s_waitcnt lgkmcnt(0)
	v_add_f16_e32 v80, v64, v0
	ds_read2_b32 v[65:66], v183 offset0:10 offset1:59
	v_add_f16_sdwa v81, v64, v0 dst_sel:DWORD dst_unused:UNUSED_PAD src0_sel:WORD_1 src1_sel:WORD_1
	v_sub_f16_e32 v82, v64, v0
	v_sub_f16_sdwa v64, v64, v0 dst_sel:DWORD dst_unused:UNUSED_PAD src0_sel:WORD_1 src1_sel:WORD_1
	ds_read2_b32 v[0:1], v194 offset0:38 offset1:87
	v_add_f16_e32 v21, v2, v7
	v_add_f16_sdwa v22, v2, v7 dst_sel:DWORD dst_unused:UNUSED_PAD src0_sel:WORD_1 src1_sel:WORD_1
	v_sub_f16_e32 v19, v2, v7
	v_sub_f16_sdwa v7, v2, v7 dst_sel:DWORD dst_unused:UNUSED_PAD src0_sel:WORD_1 src1_sel:WORD_1
	s_waitcnt lgkmcnt(0)
	v_add_f16_e32 v2, v1, v65
	v_add_f16_e32 v79, v63, v66
	v_add_f16_sdwa v83, v63, v66 dst_sel:DWORD dst_unused:UNUSED_PAD src0_sel:WORD_1 src1_sel:WORD_1
	v_sub_f16_e32 v84, v63, v66
	v_sub_f16_sdwa v63, v63, v66 dst_sel:DWORD dst_unused:UNUSED_PAD src0_sel:WORD_1 src1_sel:WORD_1
	v_add_f16_sdwa v66, v1, v65 dst_sel:DWORD dst_unused:UNUSED_PAD src0_sel:WORD_1 src1_sel:WORD_1
	v_sub_f16_e32 v85, v1, v65
	v_sub_f16_sdwa v1, v1, v65 dst_sel:DWORD dst_unused:UNUSED_PAD src0_sel:WORD_1 src1_sel:WORD_1
	v_add_f16_e32 v65, v61, v2
	v_sub_f16_e32 v86, v61, v2
	v_sub_f16_e32 v2, v2, v62
	v_sub_f16_e32 v61, v62, v61
	v_add_f16_e32 v62, v62, v65
	v_add_f16_e32 v65, v58, v66
	v_sub_f16_e32 v87, v58, v66
	v_sub_f16_e32 v66, v66, v60
	v_sub_f16_e32 v88, v60, v58
	v_add_f16_e32 v58, v60, v65
	v_add_f16_e32 v60, v59, v56
	v_sub_f16_e32 v65, v59, v56
	v_sub_f16_e32 v59, v85, v59
	v_sub_f16_e32 v91, v56, v85
	v_add_f16_e32 v60, v60, v85
	v_add_f16_e32 v85, v57, v55
	v_sub_f16_e32 v92, v57, v55
	v_sub_f16_e32 v93, v55, v1
	ds_read2_b32 v[55:56], v134 offset1:49
	v_sub_f16_e32 v57, v1, v57
	v_add_f16_e32 v85, v85, v1
	v_mul_f16_e32 v1, 0x3a52, v2
	v_mul_f16_e32 v2, 0x3a52, v66
	s_mov_b32 s6, 0xbcab
	s_waitcnt lgkmcnt(0)
	v_add_f16_e32 v66, v62, v55
	v_add_f16_sdwa v55, v58, v55 dst_sel:DWORD dst_unused:UNUSED_PAD src0_sel:DWORD src1_sel:WORD_1
	v_fma_f16 v94, v58, s6, v55
	s_mov_b32 s1, 0xb9e0
	s_mov_b32 s0, 0xb574
	v_mul_f16_e32 v58, 0xbb00, v91
	v_mul_f16_e32 v95, 0xbb00, v93
	v_fma_f16 v62, v62, s6, v66
	v_fma_f16 v58, v59, s0, v58
	v_fma_f16 v95, v57, s0, v95
	v_fma_f16 v96, v86, s1, -v1
	v_fma_f16 v97, v87, s1, -v2
	s_movk_i32 s12, 0x2b26
	v_add_f16_e32 v96, v96, v62
	v_add_f16_e32 v97, v97, v94
	v_fma_f16 v98, v60, s14, v58
	v_fma_f16 v95, v85, s14, v95
	;; [unrolled: 1-line block ×3, first 2 shown]
	v_mul_f16_e32 v61, 0x2b26, v61
	s_movk_i32 s13, 0x39e0
	v_add_f16_e32 v58, v95, v96
	v_sub_f16_e32 v99, v97, v98
	v_mul_f16_e32 v65, 0xb846, v65
	v_mul_f16_e32 v92, 0xb846, v92
	s_movk_i32 s7, 0x3574
	v_fma_f16 v61, v86, s13, -v61
	v_mul_f16_e32 v86, 0x2b26, v88
	v_pack_b32_f16 v99, v58, v99
	v_fma_f16 v58, v59, s7, v65
	v_fma_f16 v86, v87, s13, -v86
	v_fma_f16 v65, v91, s15, -v65
	;; [unrolled: 1-line block ×3, first 2 shown]
	v_fma_f16 v2, v88, s12, v2
	v_fma_f16 v57, v57, s7, v92
	v_add_f16_e32 v59, v1, v62
	v_fma_f16 v101, v60, s14, v58
	v_add_f16_e32 v61, v61, v62
	v_add_f16_e32 v62, v86, v94
	v_fma_f16 v60, v60, s14, v65
	v_fma_f16 v65, v85, s14, v87
	v_add_f16_e32 v100, v2, v94
	v_fma_f16 v102, v85, s14, v57
	v_sub_f16_e32 v85, v61, v65
	v_add_f16_e32 v61, v65, v61
	v_add_f16_e32 v65, v60, v62
	v_sub_f16_e32 v60, v62, v60
	v_add_f16_e32 v1, v59, v102
	v_sub_f16_e32 v2, v100, v101
	v_pack_b32_f16 v60, v61, v60
	v_pack_b32_f16 v61, v85, v65
	v_pack_b32_f16 v103, v1, v2
	ds_read2_b32 v[57:58], v134 offset0:98 offset1:147
	ds_read2_b32 v[1:2], v134 offset0:196 offset1:245
	s_waitcnt lgkmcnt(0)
	; wave barrier
	s_waitcnt lgkmcnt(0)
	ds_write2_b32 v202, v61, v60 offset0:3 offset1:4
	v_sub_f16_e32 v60, v96, v95
	v_add_f16_e32 v61, v98, v97
	v_sub_f16_e32 v59, v59, v102
	v_add_f16_e32 v62, v101, v100
	v_pack_b32_f16 v59, v59, v62
	v_pack_b32_f16 v60, v60, v61
	ds_write2_b32 v202, v60, v59 offset0:5 offset1:6
	v_add_f16_e32 v59, v53, v79
	v_lshlrev_b32_e32 v55, 16, v55
	v_sub_f16_e32 v60, v53, v79
	v_sub_f16_e32 v61, v79, v54
	v_sub_f16_e32 v53, v54, v53
	v_add_f16_e32 v54, v54, v59
	v_add_f16_e32 v59, v49, v83
	v_or_b32_e32 v55, v55, v66
	v_sub_f16_e32 v62, v49, v83
	v_sub_f16_e32 v65, v83, v52
	v_sub_f16_e32 v49, v52, v49
	v_add_f16_e32 v52, v52, v59
	v_add_f16_e32 v59, v51, v44
	v_sub_f16_e32 v66, v51, v44
	v_sub_f16_e32 v44, v44, v84
	v_add_f16_e32 v79, v46, v41
	v_sub_f16_e32 v83, v46, v41
	v_sub_f16_e32 v41, v41, v63
	;; [unrolled: 1-line block ×3, first 2 shown]
	v_add_f16_e32 v59, v59, v84
	v_sub_f16_e32 v46, v63, v46
	v_add_f16_e32 v63, v79, v63
	v_add_f16_e32 v84, v54, v56
	v_add_f16_sdwa v56, v52, v56 dst_sel:DWORD dst_unused:UNUSED_PAD src0_sel:DWORD src1_sel:WORD_1
	ds_write_b32 v202, v55
	v_mul_f16_e32 v55, 0x3a52, v61
	v_mul_f16_e32 v61, 0x3a52, v65
	;; [unrolled: 1-line block ×4, first 2 shown]
	v_fma_f16 v54, v54, s6, v84
	v_fma_f16 v52, v52, s6, v56
	;; [unrolled: 1-line block ×4, first 2 shown]
	v_fma_f16 v85, v60, s1, -v55
	v_fma_f16 v86, v62, s1, -v61
	v_mul_f16_e32 v66, 0xb846, v66
	v_mul_f16_e32 v83, 0xb846, v83
	v_add_f16_e32 v85, v85, v54
	v_add_f16_e32 v86, v86, v52
	v_fma_f16 v65, v59, s14, v65
	v_fma_f16 v87, v63, s14, v79
	;; [unrolled: 1-line block ×6, first 2 shown]
	v_add_f16_e32 v79, v87, v85
	v_sub_f16_e32 v88, v86, v65
	v_add_f16_e32 v55, v55, v54
	v_add_f16_e32 v61, v61, v52
	v_fma_f16 v51, v59, s14, v51
	v_fma_f16 v46, v63, s14, v46
	v_mul_f16_e32 v53, 0x2b26, v53
	v_mul_f16_e32 v49, 0x2b26, v49
	v_pack_b32_f16 v88, v79, v88
	v_add_f16_e32 v79, v55, v46
	v_sub_f16_e32 v91, v61, v51
	v_fma_f16 v53, v60, s13, -v53
	v_fma_f16 v49, v62, s13, -v49
	;; [unrolled: 1-line block ×4, first 2 shown]
	v_pack_b32_f16 v91, v79, v91
	v_add_co_u32_e32 v79, vcc, 49, v105
	v_add_f16_e32 v53, v53, v54
	v_add_f16_e32 v49, v49, v52
	v_fma_f16 v44, v59, s14, v44
	v_fma_f16 v41, v63, s14, v41
	v_mul_u32_u24_e32 v92, 7, v79
	v_sub_f16_e32 v52, v53, v41
	v_add_f16_e32 v41, v41, v53
	v_add_f16_e32 v53, v44, v49
	v_sub_f16_e32 v44, v49, v44
	v_lshlrev_b32_e32 v203, 2, v92
	v_pack_b32_f16 v41, v41, v44
	v_pack_b32_f16 v44, v52, v53
	ds_write2_b32 v202, v103, v99 offset0:1 offset1:2
	ds_write2_b32 v203, v44, v41 offset0:3 offset1:4
	v_sub_f16_e32 v41, v85, v87
	v_add_f16_e32 v44, v65, v86
	v_sub_f16_e32 v46, v55, v46
	v_add_f16_e32 v49, v51, v61
	v_pack_b32_f16 v46, v46, v49
	v_pack_b32_f16 v41, v41, v44
	ds_write2_b32 v203, v41, v46 offset0:5 offset1:6
	v_lshlrev_b32_e32 v41, 16, v56
	v_add_f16_e32 v44, v50, v80
	v_add_f16_e32 v51, v45, v81
	;; [unrolled: 1-line block ×3, first 2 shown]
	v_or_b32_e32 v41, v41, v84
	v_sub_f16_e32 v49, v80, v67
	v_add_f16_e32 v44, v67, v44
	v_sub_f16_e32 v53, v81, v68
	v_add_f16_e32 v51, v68, v51
	v_sub_f16_e32 v55, v69, v42
	v_sub_f16_e32 v42, v42, v82
	v_add_f16_e32 v59, v54, v82
	v_add_f16_e32 v54, v70, v38
	v_sub_f16_e32 v60, v70, v38
	v_sub_f16_e32 v38, v38, v64
	;; [unrolled: 1-line block ×6, first 2 shown]
	v_add_f16_e32 v62, v54, v64
	ds_write_b32 v203, v41
	v_mul_f16_e32 v41, 0x3a52, v49
	v_mul_f16_e32 v49, 0x3a52, v53
	v_add_f16_e32 v53, v44, v57
	v_add_f16_sdwa v57, v51, v57 dst_sel:DWORD dst_unused:UNUSED_PAD src0_sel:DWORD src1_sel:WORD_1
	v_mul_f16_e32 v54, 0xbb00, v42
	v_mul_f16_e32 v63, 0xbb00, v38
	v_fma_f16 v44, v44, s6, v53
	v_fma_f16 v51, v51, s6, v57
	;; [unrolled: 1-line block ×4, first 2 shown]
	v_fma_f16 v64, v46, s1, -v41
	v_fma_f16 v65, v52, s1, -v49
	v_add_f16_e32 v64, v64, v44
	v_add_f16_e32 v65, v65, v51
	v_fma_f16 v66, v59, s14, v54
	v_fma_f16 v63, v62, s14, v63
	v_sub_f16_e32 v50, v67, v50
	v_sub_f16_e32 v45, v68, v45
	v_add_f16_e32 v54, v63, v64
	v_sub_f16_e32 v67, v65, v66
	v_mul_f16_e32 v55, 0xb846, v55
	v_mul_f16_e32 v60, 0xb846, v60
	v_pack_b32_f16 v67, v54, v67
	v_fma_f16 v41, v50, s12, v41
	v_fma_f16 v49, v45, s12, v49
	;; [unrolled: 1-line block ×4, first 2 shown]
	v_add_f16_e32 v41, v41, v44
	v_add_f16_e32 v49, v49, v51
	v_fma_f16 v61, v59, s14, v54
	v_fma_f16 v56, v62, s14, v56
	v_mul_f16_e32 v50, 0x2b26, v50
	v_mul_f16_e32 v45, 0x2b26, v45
	v_add_f16_e32 v54, v41, v56
	v_sub_f16_e32 v68, v49, v61
	v_fma_f16 v46, v46, s13, -v50
	v_fma_f16 v45, v52, s13, -v45
	v_fma_f16 v42, v42, s15, -v55
	v_fma_f16 v38, v38, s15, -v60
	v_pack_b32_f16 v68, v54, v68
	v_add_co_u32_e32 v54, vcc, s16, v105
	v_add_f16_e32 v44, v46, v44
	v_add_f16_e32 v45, v45, v51
	v_fma_f16 v42, v59, s14, v42
	v_fma_f16 v38, v62, s14, v38
	v_mul_u32_u24_e32 v69, 7, v54
	v_sub_f16_e32 v46, v44, v38
	v_add_f16_e32 v38, v38, v44
	v_add_f16_e32 v44, v42, v45
	v_sub_f16_e32 v42, v45, v42
	v_lshlrev_b32_e32 v204, 2, v69
	v_pack_b32_f16 v38, v38, v42
	v_pack_b32_f16 v42, v46, v44
	ds_write2_b32 v203, v91, v88 offset0:1 offset1:2
	ds_write2_b32 v204, v42, v38 offset0:3 offset1:4
	v_sub_f16_e32 v38, v64, v63
	v_add_f16_e32 v42, v66, v65
	v_sub_f16_e32 v41, v41, v56
	v_add_f16_e32 v44, v61, v49
	v_pack_b32_f16 v41, v41, v44
	v_pack_b32_f16 v38, v38, v42
	ds_write2_b32 v204, v38, v41 offset0:5 offset1:6
	v_lshlrev_b32_e32 v38, 16, v57
	v_add_f16_e32 v41, v43, v75
	v_add_f16_e32 v45, v39, v76
	v_or_b32_e32 v38, v38, v53
	v_sub_f16_e32 v44, v75, v71
	v_add_f16_e32 v41, v71, v41
	v_sub_f16_e32 v49, v76, v72
	v_add_f16_e32 v45, v72, v45
	v_add_f16_e32 v50, v73, v36
	v_sub_f16_e32 v51, v73, v36
	v_sub_f16_e32 v36, v36, v77
	v_add_f16_e32 v53, v74, v35
	v_sub_f16_e32 v55, v74, v35
	v_sub_f16_e32 v35, v35, v78
	;; [unrolled: 1-line block ×6, first 2 shown]
	v_add_f16_e32 v57, v41, v58
	v_add_f16_sdwa v58, v45, v58 dst_sel:DWORD dst_unused:UNUSED_PAD src0_sel:DWORD src1_sel:WORD_1
	ds_write_b32 v204, v38
	v_mul_f16_e32 v38, 0x3a52, v44
	v_mul_f16_e32 v44, 0x3a52, v49
	;; [unrolled: 1-line block ×4, first 2 shown]
	v_add_f16_e32 v50, v50, v77
	v_add_f16_e32 v53, v53, v78
	v_fma_f16 v41, v41, s6, v57
	v_fma_f16 v45, v45, s6, v58
	;; [unrolled: 1-line block ×4, first 2 shown]
	v_fma_f16 v60, v42, s1, -v38
	v_fma_f16 v61, v46, s1, -v44
	v_add_f16_e32 v60, v60, v41
	v_add_f16_e32 v61, v61, v45
	v_fma_f16 v49, v50, s14, v49
	v_fma_f16 v59, v53, s14, v59
	v_add_f16_e32 v62, v59, v60
	v_sub_f16_e32 v63, v61, v49
	v_sub_f16_e32 v43, v71, v43
	;; [unrolled: 1-line block ×3, first 2 shown]
	v_pack_b32_f16 v62, v62, v63
	v_mul_f16_e32 v51, 0xb846, v51
	v_mul_f16_e32 v63, 0xb846, v55
	v_fma_f16 v38, v43, s12, v38
	v_fma_f16 v44, v39, s12, v44
	;; [unrolled: 1-line block ×4, first 2 shown]
	v_add_f16_e32 v38, v38, v41
	v_add_f16_e32 v44, v44, v45
	v_fma_f16 v52, v50, s14, v52
	v_fma_f16 v56, v53, s14, v55
	v_mul_f16_e32 v43, 0x2b26, v43
	v_mul_f16_e32 v39, 0x2b26, v39
	v_add_f16_e32 v55, v38, v56
	v_sub_f16_e32 v64, v44, v52
	s_movk_i32 s16, 0x93
	v_fma_f16 v42, v42, s13, -v43
	v_fma_f16 v39, v46, s13, -v39
	;; [unrolled: 1-line block ×4, first 2 shown]
	v_pack_b32_f16 v64, v55, v64
	v_add_co_u32_e32 v55, vcc, s16, v105
	v_add_f16_e32 v41, v42, v41
	v_add_f16_e32 v39, v39, v45
	v_fma_f16 v36, v50, s14, v36
	v_fma_f16 v35, v53, s14, v35
	v_mul_u32_u24_e32 v65, 7, v55
	v_sub_f16_e32 v42, v41, v35
	v_add_f16_e32 v35, v35, v41
	v_add_f16_e32 v41, v36, v39
	v_sub_f16_e32 v36, v39, v36
	v_lshlrev_b32_e32 v205, 2, v65
	v_pack_b32_f16 v35, v35, v36
	v_pack_b32_f16 v36, v42, v41
	ds_write2_b32 v204, v68, v67 offset0:1 offset1:2
	ds_write2_b32 v205, v36, v35 offset0:3 offset1:4
	v_sub_f16_e32 v35, v60, v59
	v_add_f16_e32 v36, v49, v61
	v_sub_f16_e32 v38, v38, v56
	v_add_f16_e32 v39, v52, v44
	v_pack_b32_f16 v38, v38, v39
	v_pack_b32_f16 v35, v35, v36
	v_add_f16_e32 v36, v14, v47
	ds_write2_b32 v205, v35, v38 offset0:5 offset1:6
	v_lshlrev_b32_e32 v35, 16, v58
	v_sub_f16_e32 v38, v14, v47
	v_sub_f16_e32 v39, v47, v34
	;; [unrolled: 1-line block ×3, first 2 shown]
	v_add_f16_e32 v34, v34, v36
	v_add_f16_e32 v36, v12, v48
	v_or_b32_e32 v35, v35, v57
	v_sub_f16_e32 v41, v12, v48
	v_sub_f16_e32 v42, v48, v33
	;; [unrolled: 1-line block ×3, first 2 shown]
	v_add_f16_e32 v33, v33, v36
	v_add_f16_e32 v36, v32, v10
	v_sub_f16_e32 v43, v32, v10
	v_sub_f16_e32 v32, v40, v32
	;; [unrolled: 1-line block ×3, first 2 shown]
	v_add_f16_e32 v36, v36, v40
	v_add_f16_e32 v40, v31, v3
	ds_write_b32 v205, v35
	v_add_f16_e32 v35, v34, v1
	v_add_f16_sdwa v1, v33, v1 dst_sel:DWORD dst_unused:UNUSED_PAD src0_sel:DWORD src1_sel:WORD_1
	v_sub_f16_e32 v44, v31, v3
	v_sub_f16_e32 v31, v37, v31
	;; [unrolled: 1-line block ×3, first 2 shown]
	v_add_f16_e32 v37, v40, v37
	v_fma_f16 v33, v33, s6, v1
	v_mul_f16_e32 v40, 0x3a52, v42
	v_mul_f16_e32 v42, 0xbb00, v10
	;; [unrolled: 1-line block ×3, first 2 shown]
	v_lshlrev_b32_e32 v1, 16, v1
	v_fma_f16 v34, v34, s6, v35
	v_mul_f16_e32 v39, 0x3a52, v39
	v_fma_f16 v42, v32, s0, v42
	v_mul_f16_e32 v45, 0xbb00, v3
	;; [unrolled: 2-line block ×3, first 2 shown]
	v_or_b32_e32 v1, v1, v35
	v_fma_f16 v10, v10, s15, -v43
	v_add_f16_e32 v35, v15, v30
	v_fma_f16 v45, v31, s0, v45
	v_fma_f16 v46, v38, s1, -v39
	v_fma_f16 v47, v41, s1, -v40
	v_fma_f16 v42, v36, s14, v42
	v_fma_f16 v31, v31, s7, v44
	;; [unrolled: 1-line block ×3, first 2 shown]
	v_fma_f16 v3, v3, s15, -v44
	v_fma_f16 v10, v36, s14, v10
	v_sub_f16_e32 v36, v15, v30
	v_sub_f16_e32 v30, v30, v26
	v_sub_f16_e32 v15, v26, v15
	v_add_f16_e32 v26, v26, v35
	v_add_f16_e32 v35, v13, v29
	v_add_f16_e32 v46, v46, v34
	v_add_f16_e32 v47, v47, v33
	v_fma_f16 v45, v37, s14, v45
	v_fma_f16 v39, v14, s12, v39
	;; [unrolled: 1-line block ×3, first 2 shown]
	v_mul_f16_e32 v14, 0x2b26, v14
	v_fma_f16 v3, v37, s14, v3
	v_sub_f16_e32 v37, v13, v29
	v_sub_f16_e32 v29, v29, v25
	;; [unrolled: 1-line block ×3, first 2 shown]
	v_add_f16_e32 v25, v25, v35
	v_add_f16_e32 v35, v24, v11
	;; [unrolled: 1-line block ×3, first 2 shown]
	v_sub_f16_e32 v49, v47, v42
	v_fma_f16 v40, v12, s12, v40
	v_add_f16_e32 v39, v39, v34
	v_fma_f16 v14, v38, s13, -v14
	v_sub_f16_e32 v38, v24, v11
	v_sub_f16_e32 v24, v28, v24
	v_sub_f16_e32 v11, v11, v28
	v_add_f16_e32 v28, v35, v28
	v_add_f16_e32 v35, v23, v4
	v_pack_b32_f16 v48, v48, v49
	v_add_f16_e32 v40, v40, v33
	v_add_f16_e32 v49, v39, v31
	v_sub_f16_e32 v31, v39, v31
	v_sub_f16_e32 v39, v23, v4
	;; [unrolled: 1-line block ×4, first 2 shown]
	v_add_f16_e32 v27, v35, v27
	v_add_f16_e32 v35, v26, v2
	v_add_f16_sdwa v2, v25, v2 dst_sel:DWORD dst_unused:UNUSED_PAD src0_sel:DWORD src1_sel:WORD_1
	v_sub_f16_e32 v50, v40, v32
	v_add_f16_e32 v32, v32, v40
	v_lshlrev_b32_e32 v40, 16, v2
	v_or_b32_e32 v40, v40, v35
	v_fma_f16 v26, v26, s6, v35
	v_fma_f16 v2, v25, s6, v2
	v_mul_f16_e32 v25, 0x3a52, v30
	v_mul_f16_e32 v30, 0x2b26, v15
	;; [unrolled: 1-line block ×4, first 2 shown]
	v_fma_f16 v15, v15, s12, v25
	v_fma_f16 v30, v36, s13, -v30
	v_fma_f16 v25, v36, s1, -v25
	v_fma_f16 v13, v13, s12, v29
	v_fma_f16 v35, v37, s13, -v35
	v_fma_f16 v29, v37, s1, -v29
	v_mul_f16_e32 v36, 0xb846, v38
	v_mul_f16_e32 v37, 0xbb00, v11
	v_fma_f16 v11, v11, s15, -v36
	v_fma_f16 v36, v24, s7, v36
	v_fma_f16 v24, v24, s0, v37
	v_mul_f16_e32 v37, 0xb846, v39
	v_mul_f16_e32 v38, 0xbb00, v4
	v_fma_f16 v4, v4, s15, -v37
	v_fma_f16 v37, v23, s7, v37
	v_fma_f16 v23, v23, s0, v38
	v_add_f16_e32 v15, v15, v26
	v_add_f16_e32 v30, v30, v26
	;; [unrolled: 1-line block ×6, first 2 shown]
	v_fma_f16 v29, v28, s14, v36
	v_fma_f16 v11, v28, s14, v11
	;; [unrolled: 1-line block ×6, first 2 shown]
	v_sub_f16_e32 v27, v30, v4
	v_add_f16_e32 v4, v4, v30
	v_add_f16_e32 v30, v11, v26
	v_sub_f16_e32 v11, v26, v11
	v_add_f16_e32 v26, v23, v25
	v_sub_f16_e32 v23, v25, v23
	v_sub_f16_e32 v25, v2, v24
	v_add_f16_e32 v2, v24, v2
	v_add_f16_e32 v24, v15, v28
	v_sub_f16_e32 v15, v15, v28
	v_sub_f16_e32 v28, v13, v29
	v_add_f16_e32 v13, v29, v13
	v_add_f16_e32 v29, v18, v21
	s_movk_i32 s16, 0xc4
	v_mul_f16_e32 v12, 0x2b26, v12
	v_sub_f16_e32 v35, v18, v21
	v_sub_f16_e32 v21, v21, v20
	;; [unrolled: 1-line block ×3, first 2 shown]
	v_add_f16_e32 v20, v20, v29
	v_add_f16_e32 v29, v17, v22
	v_add_co_u32_e32 v56, vcc, s16, v105
	v_fma_f16 v12, v41, s13, -v12
	v_sub_f16_e32 v36, v17, v22
	v_sub_f16_e32 v22, v22, v9
	;; [unrolled: 1-line block ×3, first 2 shown]
	v_add_f16_e32 v9, v9, v29
	v_add_f16_e32 v29, v6, v16
	v_pack_b32_f16 v49, v49, v50
	v_mul_u32_u24_e32 v50, 7, v56
	v_add_f16_e32 v14, v14, v34
	v_add_f16_e32 v12, v12, v33
	v_sub_f16_e32 v37, v6, v16
	v_sub_f16_e32 v6, v19, v6
	;; [unrolled: 1-line block ×3, first 2 shown]
	v_add_f16_e32 v19, v29, v19
	v_add_f16_e32 v29, v5, v8
	v_lshlrev_b32_e32 v208, 2, v50
	v_sub_f16_e32 v33, v14, v3
	v_add_f16_e32 v3, v3, v14
	v_add_f16_e32 v14, v10, v12
	v_sub_f16_e32 v10, v12, v10
	v_sub_f16_e32 v38, v5, v8
	;; [unrolled: 1-line block ×4, first 2 shown]
	v_add_f16_e32 v7, v29, v7
	v_add_f16_e32 v29, v20, v0
	v_add_f16_sdwa v0, v9, v0 dst_sel:DWORD dst_unused:UNUSED_PAD src0_sel:DWORD src1_sel:WORD_1
	ds_write2_b32 v205, v64, v62 offset0:1 offset1:2
	v_sub_f16_e32 v12, v46, v45
	v_add_f16_e32 v34, v42, v47
	v_lshlrev_b32_e32 v39, 16, v0
	s_movk_i32 s16, 0xf5
	ds_write_b32 v208, v1
	v_pack_b32_f16 v1, v3, v10
	v_pack_b32_f16 v3, v33, v14
	v_or_b32_e32 v39, v39, v29
	v_fma_f16 v20, v20, s6, v29
	v_fma_f16 v0, v9, s6, v0
	v_mul_f16_e32 v9, 0x3a52, v21
	v_mul_f16_e32 v21, 0x2b26, v18
	;; [unrolled: 1-line block ×4, first 2 shown]
	v_add_co_u32_e32 v58, vcc, s16, v105
	ds_write2_b32 v208, v3, v1 offset0:3 offset1:4
	v_pack_b32_f16 v1, v31, v32
	v_pack_b32_f16 v3, v12, v34
	v_fma_f16 v18, v18, s12, v9
	v_fma_f16 v21, v35, s13, -v21
	v_fma_f16 v9, v35, s1, -v9
	v_fma_f16 v17, v17, s12, v22
	v_fma_f16 v29, v36, s13, -v29
	v_fma_f16 v22, v36, s1, -v22
	v_mul_f16_e32 v35, 0xb846, v37
	v_mul_f16_e32 v36, 0xbb00, v16
	ds_write2_b32 v208, v3, v1 offset0:5 offset1:6
	v_mul_u32_u24_e32 v1, 7, v58
	v_fma_f16 v16, v16, s15, -v35
	v_fma_f16 v35, v6, s7, v35
	v_fma_f16 v6, v6, s0, v36
	v_mul_f16_e32 v36, 0xb846, v38
	v_mul_f16_e32 v37, 0xbb00, v8
	v_lshlrev_b32_e32 v214, 2, v1
	v_pack_b32_f16 v1, v26, v25
	v_pack_b32_f16 v3, v24, v28
	ds_write2_b32 v208, v49, v48 offset0:1 offset1:2
	v_fma_f16 v8, v8, s15, -v36
	v_fma_f16 v36, v5, s7, v36
	v_fma_f16 v5, v5, s0, v37
	s_movk_i32 s16, 0x126
	ds_write2_b32 v214, v3, v1 offset0:1 offset1:2
	v_pack_b32_f16 v1, v4, v11
	v_pack_b32_f16 v3, v27, v30
	v_add_f16_e32 v18, v18, v20
	v_add_f16_e32 v21, v21, v20
	;; [unrolled: 1-line block ×6, first 2 shown]
	v_fma_f16 v22, v19, s14, v35
	v_fma_f16 v16, v19, s14, v16
	;; [unrolled: 1-line block ×6, first 2 shown]
	v_add_co_u32_e32 v57, vcc, s16, v105
	ds_write2_b32 v214, v3, v1 offset0:3 offset1:4
	v_pack_b32_f16 v1, v15, v13
	v_pack_b32_f16 v2, v23, v2
	v_sub_f16_e32 v7, v21, v8
	v_add_f16_e32 v8, v8, v21
	v_add_f16_e32 v21, v16, v20
	v_sub_f16_e32 v16, v20, v16
	v_add_f16_e32 v20, v5, v9
	v_sub_f16_e32 v5, v9, v5
	v_sub_f16_e32 v9, v0, v6
	v_add_f16_e32 v0, v6, v0
	v_add_f16_e32 v6, v18, v19
	v_sub_f16_e32 v18, v18, v19
	v_sub_f16_e32 v19, v17, v22
	ds_write2_b32 v214, v2, v1 offset0:5 offset1:6
	v_mul_u32_u24_e32 v1, 7, v57
	v_lshlrev_b32_e32 v210, 2, v1
	v_pack_b32_f16 v1, v20, v9
	v_pack_b32_f16 v2, v6, v19
	v_add_f16_e32 v17, v22, v17
	ds_write_b32 v214, v40
	ds_write2_b32 v210, v2, v1 offset0:1 offset1:2
	v_pack_b32_f16 v1, v8, v16
	v_pack_b32_f16 v2, v7, v21
	ds_write2_b32 v210, v2, v1 offset0:3 offset1:4
	v_pack_b32_f16 v1, v18, v17
	v_pack_b32_f16 v0, v5, v0
	v_mov_b32_e32 v12, 37
	ds_write2_b32 v210, v0, v1 offset0:5 offset1:6
	v_mul_lo_u16_sdwa v0, v105, v12 dst_sel:DWORD dst_unused:UNUSED_PAD src0_sel:BYTE_0 src1_sel:DWORD
	v_sub_u16_sdwa v1, v105, v0 dst_sel:DWORD dst_unused:UNUSED_PAD src0_sel:DWORD src1_sel:BYTE_1
	v_lshrrev_b16_e32 v1, 1, v1
	v_and_b32_e32 v1, 0x7f, v1
	v_add_u16_sdwa v0, v1, v0 dst_sel:DWORD dst_unused:UNUSED_PAD src0_sel:DWORD src1_sel:BYTE_1
	v_lshrrev_b16_e32 v15, 2, v0
	v_mul_lo_u16_e32 v0, 7, v15
	v_sub_u16_e32 v0, v105, v0
	v_and_b32_e32 v16, 0xff, v0
	v_mov_b32_e32 v1, v105
	v_mul_u32_u24_e32 v0, 6, v16
	ds_write_b32 v210, v39
	s_waitcnt lgkmcnt(0)
	; wave barrier
	s_waitcnt lgkmcnt(0)
	buffer_store_dword v1, off, s[20:23], 0 offset:180 ; 4-byte Folded Spill
	v_lshlrev_b32_e32 v4, 2, v0
	global_load_dwordx4 v[158:161], v4, s[2:3]
	global_load_dwordx2 v[178:179], v4, s[2:3] offset:16
	ds_read2_b32 v[4:5], v194 offset0:38 offset1:87
	ds_read2_b32 v[10:11], v185 offset0:174 offset1:223
	;; [unrolled: 1-line block ×4, first 2 shown]
	s_movk_i32 s16, 0x2493
	s_waitcnt lgkmcnt(3)
	v_lshrrev_b32_e32 v13, 16, v5
	s_waitcnt lgkmcnt(2)
	v_lshrrev_b32_e32 v14, 16, v10
	;; [unrolled: 2-line block ×4, first 2 shown]
	v_mul_u32_u24_e32 v15, 49, v15
	v_add_lshl_u32 v206, v15, v16, 2
	v_mov_b32_e32 v2, v128
	s_waitcnt vmcnt(1)
	v_mul_f16_sdwa v19, v13, v158 dst_sel:DWORD dst_unused:UNUSED_PAD src0_sel:DWORD src1_sel:WORD_1
	v_fma_f16 v21, v5, v158, -v19
	v_mul_f16_sdwa v5, v5, v158 dst_sel:DWORD dst_unused:UNUSED_PAD src0_sel:DWORD src1_sel:WORD_1
	v_fma_f16 v13, v13, v158, v5
	v_mul_f16_sdwa v5, v14, v159 dst_sel:DWORD dst_unused:UNUSED_PAD src0_sel:DWORD src1_sel:WORD_1
	v_fma_f16 v22, v10, v159, -v5
	v_mul_f16_sdwa v5, v10, v159 dst_sel:DWORD dst_unused:UNUSED_PAD src0_sel:DWORD src1_sel:WORD_1
	v_fma_f16 v14, v14, v159, v5
	s_waitcnt vmcnt(0)
	v_mul_f16_sdwa v5, v17, v178 dst_sel:DWORD dst_unused:UNUSED_PAD src0_sel:DWORD src1_sel:WORD_1
	v_fma_f16 v23, v7, v178, -v5
	v_mul_f16_sdwa v5, v7, v178 dst_sel:DWORD dst_unused:UNUSED_PAD src0_sel:DWORD src1_sel:WORD_1
	v_fma_f16 v24, v17, v178, v5
	v_mul_f16_sdwa v5, v18, v179 dst_sel:DWORD dst_unused:UNUSED_PAD src0_sel:DWORD src1_sel:WORD_1
	v_fma_f16 v7, v8, v179, -v5
	v_mul_f16_sdwa v5, v8, v179 dst_sel:DWORD dst_unused:UNUSED_PAD src0_sel:DWORD src1_sel:WORD_1
	v_fma_f16 v8, v18, v179, v5
	v_mul_lo_u16_sdwa v5, v79, v12 dst_sel:DWORD dst_unused:UNUSED_PAD src0_sel:BYTE_0 src1_sel:DWORD
	v_sub_u16_sdwa v10, v79, v5 dst_sel:DWORD dst_unused:UNUSED_PAD src0_sel:DWORD src1_sel:BYTE_1
	v_lshrrev_b16_e32 v10, 1, v10
	v_and_b32_e32 v10, 0x7f, v10
	v_add_u16_sdwa v5, v10, v5 dst_sel:DWORD dst_unused:UNUSED_PAD src0_sel:DWORD src1_sel:BYTE_1
	v_mul_lo_u16_sdwa v10, v54, v12 dst_sel:DWORD dst_unused:UNUSED_PAD src0_sel:BYTE_0 src1_sel:DWORD
	v_sub_u16_sdwa v17, v54, v10 dst_sel:DWORD dst_unused:UNUSED_PAD src0_sel:DWORD src1_sel:BYTE_1
	v_lshrrev_b16_e32 v17, 1, v17
	v_and_b32_e32 v17, 0x7f, v17
	v_add_u16_sdwa v10, v17, v10 dst_sel:DWORD dst_unused:UNUSED_PAD src0_sel:DWORD src1_sel:BYTE_1
	v_mul_lo_u16_sdwa v17, v55, v12 dst_sel:DWORD dst_unused:UNUSED_PAD src0_sel:BYTE_0 src1_sel:DWORD
	v_sub_u16_sdwa v18, v55, v17 dst_sel:DWORD dst_unused:UNUSED_PAD src0_sel:DWORD src1_sel:BYTE_1
	v_lshrrev_b16_e32 v18, 1, v18
	v_and_b32_e32 v18, 0x7f, v18
	v_mul_lo_u16_sdwa v12, v56, v12 dst_sel:DWORD dst_unused:UNUSED_PAD src0_sel:BYTE_0 src1_sel:DWORD
	v_add_u16_sdwa v17, v18, v17 dst_sel:DWORD dst_unused:UNUSED_PAD src0_sel:DWORD src1_sel:BYTE_1
	v_sub_u16_sdwa v18, v56, v12 dst_sel:DWORD dst_unused:UNUSED_PAD src0_sel:DWORD src1_sel:BYTE_1
	v_lshrrev_b16_e32 v18, 1, v18
	v_and_b32_e32 v18, 0x7f, v18
	v_add_u16_sdwa v18, v18, v12 dst_sel:DWORD dst_unused:UNUSED_PAD src0_sel:DWORD src1_sel:BYTE_1
	v_mul_u32_u24_sdwa v12, v58, s16 dst_sel:DWORD dst_unused:UNUSED_PAD src0_sel:WORD_0 src1_sel:DWORD
	v_sub_u16_sdwa v19, v58, v12 dst_sel:DWORD dst_unused:UNUSED_PAD src0_sel:DWORD src1_sel:WORD_1
	v_add_f16_e32 v59, v21, v7
	v_sub_f16_e32 v60, v21, v7
	v_add_f16_e32 v62, v13, v8
	v_sub_f16_e32 v61, v13, v8
	ds_read2_b32 v[7:8], v128 offset0:84 offset1:133
	v_lshrrev_b16_e32 v19, 1, v19
	v_add_u16_sdwa v20, v19, v12 dst_sel:DWORD dst_unused:UNUSED_PAD src0_sel:DWORD src1_sel:WORD_1
	v_mul_u32_u24_sdwa v12, v57, s16 dst_sel:DWORD dst_unused:UNUSED_PAD src0_sel:WORD_0 src1_sel:DWORD
	v_add_f16_e32 v66, v14, v24
	v_sub_f16_e32 v65, v14, v24
	ds_read2_b32 v[13:14], v188 offset0:92 offset1:141
	v_sub_u16_sdwa v19, v57, v12 dst_sel:DWORD dst_unused:UNUSED_PAD src0_sel:DWORD src1_sel:WORD_1
	v_lshrrev_b16_e32 v19, 1, v19
	v_lshrrev_b16_e32 v122, 2, v5
	v_add_u16_sdwa v19, v19, v12 dst_sel:DWORD dst_unused:UNUSED_PAD src0_sel:DWORD src1_sel:WORD_1
	s_waitcnt lgkmcnt(1)
	v_lshrrev_b32_e32 v12, 16, v8
	v_mul_f16_sdwa v21, v8, v160 dst_sel:DWORD dst_unused:UNUSED_PAD src0_sel:DWORD src1_sel:WORD_1
	v_mul_lo_u16_e32 v5, 7, v122
	v_fma_f16 v24, v12, v160, v21
	v_mul_f16_sdwa v12, v12, v160 dst_sel:DWORD dst_unused:UNUSED_PAD src0_sel:DWORD src1_sel:WORD_1
	v_sub_u16_e32 v5, v79, v5
	v_fma_f16 v8, v8, v160, -v12
	s_waitcnt lgkmcnt(0)
	v_lshrrev_b32_e32 v12, 16, v13
	v_mul_f16_sdwa v21, v13, v161 dst_sel:DWORD dst_unused:UNUSED_PAD src0_sel:DWORD src1_sel:WORD_1
	v_and_b32_e32 v123, 0xff, v5
	v_fma_f16 v25, v12, v161, v21
	v_mul_f16_sdwa v12, v12, v161 dst_sel:DWORD dst_unused:UNUSED_PAD src0_sel:DWORD src1_sel:WORD_1
	v_mul_u32_u24_e32 v5, 6, v123
	v_fma_f16 v12, v13, v161, -v12
	v_lshlrev_b32_e32 v5, 2, v5
	v_add_f16_e32 v64, v22, v23
	v_sub_f16_e32 v63, v22, v23
	v_add_f16_e32 v22, v8, v12
	v_sub_f16_e32 v21, v12, v8
	ds_read2_b32 v[12:13], v134 offset1:49
	global_load_dwordx2 v[176:177], v5, s[2:3] offset:16
	global_load_dwordx4 v[91:94], v5, s[2:3]
	v_add_f16_e32 v23, v24, v25
	v_sub_f16_e32 v8, v25, v24
	v_add_f16_e32 v24, v64, v59
	v_add_f16_e32 v24, v22, v24
	;; [unrolled: 1-line block ×3, first 2 shown]
	v_sub_f16_e32 v15, v59, v22
	v_add_f16_e32 v25, v23, v25
	s_waitcnt lgkmcnt(0)
	v_add_f16_e32 v26, v24, v12
	v_sub_f16_e32 v78, v22, v64
	v_sub_f16_e32 v16, v62, v23
	v_mul_f16_e32 v113, 0x3a52, v15
	v_add_f16_sdwa v12, v25, v12 dst_sel:DWORD dst_unused:UNUSED_PAD src0_sel:DWORD src1_sel:WORD_1
	v_fma_f16 v67, v24, s6, v26
	v_sub_f16_e32 v80, v23, v66
	v_add_f16_e32 v22, v21, v63
	v_sub_f16_e32 v23, v21, v63
	v_sub_f16_e32 v81, v60, v21
	v_add_f16_e32 v21, v8, v65
	v_sub_f16_e32 v24, v8, v65
	v_sub_f16_e32 v82, v61, v8
	v_mul_f16_e32 v114, 0x3a52, v16
	v_fma_f16 v8, v78, s12, v113
	v_lshlrev_b32_e32 v27, 16, v12
	v_fma_f16 v12, v25, s6, v12
	v_mul_f16_e32 v115, 0xb846, v23
	v_add_f16_e32 v117, v8, v67
	v_fma_f16 v8, v80, s12, v114
	v_add_f16_e32 v111, v22, v60
	v_mul_f16_e32 v116, 0xb846, v24
	v_add_f16_e32 v118, v8, v12
	v_fma_f16 v8, v81, s7, v115
	v_add_f16_e32 v112, v21, v61
	v_fma_f16 v119, v111, s14, v8
	v_fma_f16 v8, v82, s7, v116
	;; [unrolled: 1-line block ×3, first 2 shown]
	v_add_f16_e32 v8, v120, v117
	v_sub_f16_e32 v15, v118, v119
	v_lshrrev_b16_e32 v124, 2, v10
	v_pack_b32_f16 v121, v8, v15
	v_mul_lo_u16_e32 v8, 7, v124
	v_sub_u16_e32 v8, v54, v8
	v_and_b32_e32 v125, 0xff, v8
	v_mul_u32_u24_e32 v8, 6, v125
	v_lshrrev_b16_e32 v126, 2, v17
	v_lshlrev_b32_e32 v16, 2, v8
	v_mul_lo_u16_e32 v8, 7, v126
	v_sub_u16_e32 v8, v55, v8
	v_and_b32_e32 v127, 0xff, v8
	v_mul_u32_u24_e32 v8, 6, v127
	v_lshrrev_b16_e32 v70, 2, v18
	v_lshrrev_b16_e32 v15, 2, v20
	v_lshlrev_b32_e32 v17, 2, v8
	v_mul_lo_u16_e32 v8, 7, v70
	v_mul_lo_u16_e32 v5, 7, v15
	v_sub_u16_e32 v8, v56, v8
	v_sub_u16_e32 v69, v58, v5
	v_and_b32_e32 v71, 0xff, v8
	v_mul_lo_u16_e32 v5, 6, v69
	v_mul_u32_u24_e32 v8, 6, v71
	v_lshlrev_b32_e32 v20, 2, v5
	v_lshrrev_b16_e32 v5, 2, v19
	v_lshlrev_b32_e32 v18, 2, v8
	v_mul_lo_u16_e32 v8, 7, v5
	v_sub_u16_e32 v8, v57, v8
	v_mul_lo_u16_e32 v10, 6, v8
	v_lshlrev_b32_e32 v19, 2, v10
	ds_read_b32 v10, v134 offset:9408
	ds_read2_b32 v[72:73], v194 offset0:136 offset1:185
	ds_read2_b32 v[74:75], v187 offset0:54 offset1:103
	;; [unrolled: 1-line block ×17, first 2 shown]
	global_load_dwordx2 v[135:136], v16, s[2:3] offset:16
	global_load_dwordx4 v[138:141], v16, s[2:3]
	global_load_dwordx2 v[95:96], v17, s[2:3] offset:16
	global_load_dwordx4 v[142:145], v17, s[2:3]
	;; [unrolled: 2-line block ×5, first 2 shown]
	v_sub_f16_e32 v60, v63, v60
	v_sub_f16_e32 v61, v65, v61
	;; [unrolled: 1-line block ×4, first 2 shown]
	v_mul_f16_e32 v63, 0x2b26, v78
	v_mul_f16_e32 v64, 0x2b26, v80
	v_fma_f16 v65, v60, s15, -v115
	v_mul_f16_e32 v60, 0xbb00, v60
	v_fma_f16 v66, v61, s15, -v116
	;; [unrolled: 2-line block ×3, first 2 shown]
	v_fma_f16 v59, v59, s1, -v113
	v_fma_f16 v64, v62, s13, -v64
	;; [unrolled: 1-line block ×3, first 2 shown]
	v_fma_f16 v60, v81, s0, v60
	v_fma_f16 v61, v82, s0, v61
	v_add_f16_e32 v59, v59, v67
	v_add_f16_e32 v64, v64, v12
	;; [unrolled: 1-line block ×3, first 2 shown]
	v_fma_f16 v60, v111, s14, v60
	v_fma_f16 v61, v112, s14, v61
	v_or_b32_e32 v68, v27, v26
	v_add_f16_e32 v63, v63, v67
	v_fma_f16 v62, v111, s14, v65
	v_fma_f16 v65, v112, s14, v66
	v_add_f16_e32 v66, v61, v59
	v_sub_f16_e32 v67, v12, v60
	s_waitcnt lgkmcnt(0)
	; wave barrier
	s_waitcnt lgkmcnt(0)
	ds_write2_b32 v206, v68, v121 offset1:7
	v_pack_b32_f16 v66, v66, v67
	v_sub_f16_e32 v67, v63, v65
	v_add_f16_e32 v68, v62, v64
	v_add_f16_e32 v63, v65, v63
	v_sub_f16_e32 v62, v64, v62
	v_sub_f16_e32 v59, v59, v61
	v_add_f16_e32 v12, v60, v12
	v_pack_b32_f16 v60, v63, v62
	v_pack_b32_f16 v12, v59, v12
	ds_write2_b32 v206, v60, v12 offset0:28 offset1:35
	v_lshrrev_b32_e32 v12, 16, v11
	s_waitcnt vmcnt(10)
	v_mul_f16_sdwa v59, v12, v92 dst_sel:DWORD dst_unused:UNUSED_PAD src0_sel:DWORD src1_sel:WORD_1
	v_fma_f16 v59, v11, v92, -v59
	v_mul_f16_sdwa v11, v11, v92 dst_sel:DWORD dst_unused:UNUSED_PAD src0_sel:DWORD src1_sel:WORD_1
	v_fma_f16 v11, v12, v92, v11
	v_lshrrev_b32_e32 v12, 16, v14
	v_mul_f16_sdwa v60, v12, v94 dst_sel:DWORD dst_unused:UNUSED_PAD src0_sel:DWORD src1_sel:WORD_1
	v_fma_f16 v60, v14, v94, -v60
	v_mul_f16_sdwa v14, v14, v94 dst_sel:DWORD dst_unused:UNUSED_PAD src0_sel:DWORD src1_sel:WORD_1
	v_fma_f16 v12, v12, v94, v14
	v_lshrrev_b32_e32 v14, 16, v9
	v_mul_f16_sdwa v61, v14, v177 dst_sel:DWORD dst_unused:UNUSED_PAD src0_sel:DWORD src1_sel:WORD_1
	v_lshrrev_b32_e32 v63, 16, v72
	v_mul_f16_sdwa v64, v72, v91 dst_sel:DWORD dst_unused:UNUSED_PAD src0_sel:DWORD src1_sel:WORD_1
	v_fma_f16 v61, v9, v177, -v61
	v_mul_f16_sdwa v9, v9, v177 dst_sel:DWORD dst_unused:UNUSED_PAD src0_sel:DWORD src1_sel:WORD_1
	v_fma_f16 v64, v63, v91, v64
	v_mul_f16_sdwa v63, v63, v91 dst_sel:DWORD dst_unused:UNUSED_PAD src0_sel:DWORD src1_sel:WORD_1
	v_pack_b32_f16 v67, v67, v68
	v_fma_f16 v9, v14, v177, v9
	v_fma_f16 v63, v72, v91, -v63
	ds_write2_b32 v206, v66, v67 offset0:14 offset1:21
	v_add_f16_e32 v65, v63, v61
	v_sub_f16_e32 v61, v63, v61
	v_add_f16_e32 v63, v64, v9
	v_sub_f16_e32 v9, v64, v9
	v_lshrrev_b32_e32 v64, 16, v76
	v_mul_f16_sdwa v66, v76, v176 dst_sel:DWORD dst_unused:UNUSED_PAD src0_sel:DWORD src1_sel:WORD_1
	v_fma_f16 v66, v64, v176, v66
	v_mul_f16_sdwa v64, v64, v176 dst_sel:DWORD dst_unused:UNUSED_PAD src0_sel:DWORD src1_sel:WORD_1
	v_fma_f16 v64, v76, v176, -v64
	v_add_f16_e32 v67, v59, v64
	v_sub_f16_e32 v59, v59, v64
	v_add_f16_e32 v64, v11, v66
	v_sub_f16_e32 v11, v11, v66
	v_lshrrev_b32_e32 v66, 16, v74
	v_mul_f16_sdwa v68, v74, v93 dst_sel:DWORD dst_unused:UNUSED_PAD src0_sel:DWORD src1_sel:WORD_1
	v_fma_f16 v68, v66, v93, v68
	v_mul_f16_sdwa v66, v66, v93 dst_sel:DWORD dst_unused:UNUSED_PAD src0_sel:DWORD src1_sel:WORD_1
	v_fma_f16 v66, v74, v93, -v66
	v_add_f16_e32 v72, v66, v60
	v_sub_f16_e32 v60, v60, v66
	v_add_f16_e32 v66, v68, v12
	v_sub_f16_e32 v12, v12, v68
	v_add_f16_e32 v68, v67, v65
	v_add_f16_e32 v74, v64, v63
	v_sub_f16_e32 v14, v117, v120
	v_add_f16_e32 v62, v119, v118
	v_add_f16_e32 v68, v72, v68
	;; [unrolled: 1-line block ×4, first 2 shown]
	v_add_f16_sdwa v13, v74, v13 dst_sel:DWORD dst_unused:UNUSED_PAD src0_sel:DWORD src1_sel:WORD_1
	v_pack_b32_f16 v14, v14, v62
	v_lshlrev_b32_e32 v78, 16, v13
	ds_write_b32 v206, v14 offset:168
	v_mul_u32_u24_e32 v14, 49, v122
	v_or_b32_e32 v78, v78, v76
	v_fma_f16 v68, v68, s6, v76
	v_fma_f16 v13, v74, s6, v13
	v_add_lshl_u32 v209, v14, v123, 2
	v_sub_f16_e32 v14, v65, v72
	v_sub_f16_e32 v62, v72, v67
	;; [unrolled: 1-line block ×4, first 2 shown]
	v_add_f16_e32 v74, v60, v59
	v_sub_f16_e32 v76, v60, v59
	v_sub_f16_e32 v60, v61, v60
	v_add_f16_e32 v80, v12, v11
	v_sub_f16_e32 v81, v12, v11
	v_add_f16_e32 v74, v74, v61
	v_mul_f16_e32 v14, 0x3a52, v14
	v_mul_f16_e32 v72, 0x3a52, v72
	v_mul_f16_e32 v76, 0xb846, v76
	v_sub_f16_e32 v63, v64, v63
	v_sub_f16_e32 v59, v59, v61
	v_mul_f16_e32 v61, 0x2b26, v66
	v_sub_f16_e32 v12, v9, v12
	v_add_f16_e32 v80, v80, v9
	v_mul_f16_e32 v81, 0xb846, v81
	v_fma_f16 v82, v62, s12, v14
	v_sub_f16_e32 v9, v11, v9
	v_mul_f16_e32 v11, 0x2b26, v62
	v_fma_f16 v61, v63, s13, -v61
	v_fma_f16 v62, v63, s1, -v72
	v_fma_f16 v63, v59, s15, -v76
	v_mul_f16_e32 v59, 0xbb00, v59
	v_fma_f16 v112, v60, s7, v76
	v_sub_f16_e32 v65, v67, v65
	v_fma_f16 v59, v60, s0, v59
	v_fma_f16 v60, v9, s15, -v81
	v_mul_f16_e32 v9, 0xbb00, v9
	v_fma_f16 v111, v66, s12, v72
	v_fma_f16 v14, v65, s1, -v14
	v_fma_f16 v9, v12, s0, v9
	v_add_f16_e32 v111, v111, v13
	v_fma_f16 v113, v12, s7, v81
	v_fma_f16 v11, v65, s13, -v11
	v_add_f16_e32 v12, v14, v68
	v_add_f16_e32 v14, v61, v13
	;; [unrolled: 1-line block ×3, first 2 shown]
	v_fma_f16 v59, v74, s14, v59
	v_fma_f16 v9, v80, s14, v9
	v_add_f16_e32 v11, v11, v68
	v_fma_f16 v61, v74, s14, v63
	v_fma_f16 v60, v80, s14, v60
	v_add_f16_e32 v62, v9, v12
	v_sub_f16_e32 v63, v13, v59
	v_pack_b32_f16 v62, v62, v63
	v_sub_f16_e32 v63, v11, v60
	v_add_f16_e32 v64, v61, v14
	v_add_f16_e32 v11, v60, v11
	v_sub_f16_e32 v14, v14, v61
	v_sub_f16_e32 v9, v12, v9
	v_add_f16_e32 v12, v59, v13
	v_pack_b32_f16 v63, v63, v64
	v_pack_b32_f16 v11, v11, v14
	;; [unrolled: 1-line block ×3, first 2 shown]
	ds_write2_b32 v209, v62, v63 offset0:14 offset1:21
	ds_write2_b32 v209, v11, v9 offset0:28 offset1:35
	v_lshrrev_b32_e32 v9, 16, v73
	v_lshrrev_b32_e32 v62, 16, v103
	s_waitcnt vmcnt(9)
	v_mul_f16_sdwa v63, v103, v136 dst_sel:DWORD dst_unused:UNUSED_PAD src0_sel:DWORD src1_sel:WORD_1
	s_waitcnt vmcnt(8)
	v_mul_f16_sdwa v11, v9, v138 dst_sel:DWORD dst_unused:UNUSED_PAD src0_sel:DWORD src1_sel:WORD_1
	v_mul_f16_sdwa v12, v73, v138 dst_sel:DWORD dst_unused:UNUSED_PAD src0_sel:DWORD src1_sel:WORD_1
	v_fma_f16 v63, v62, v136, v63
	v_mul_f16_sdwa v62, v62, v136 dst_sel:DWORD dst_unused:UNUSED_PAD src0_sel:DWORD src1_sel:WORD_1
	v_fma_f16 v11, v73, v138, -v11
	v_fma_f16 v9, v9, v138, v12
	v_lshrrev_b32_e32 v12, 16, v75
	v_mul_f16_sdwa v14, v75, v140 dst_sel:DWORD dst_unused:UNUSED_PAD src0_sel:DWORD src1_sel:WORD_1
	v_fma_f16 v62, v103, v136, -v62
	v_mul_f16_sdwa v13, v12, v140 dst_sel:DWORD dst_unused:UNUSED_PAD src0_sel:DWORD src1_sel:WORD_1
	v_fma_f16 v12, v12, v140, v14
	v_lshrrev_b32_e32 v14, 16, v77
	v_add_f16_e32 v64, v11, v62
	v_sub_f16_e32 v11, v11, v62
	v_add_f16_e32 v62, v9, v63
	v_sub_f16_e32 v9, v9, v63
	v_lshrrev_b32_e32 v63, 16, v85
	v_mul_f16_sdwa v65, v85, v139 dst_sel:DWORD dst_unused:UNUSED_PAD src0_sel:DWORD src1_sel:WORD_1
	v_mul_f16_sdwa v59, v14, v135 dst_sel:DWORD dst_unused:UNUSED_PAD src0_sel:DWORD src1_sel:WORD_1
	v_mul_f16_sdwa v60, v77, v135 dst_sel:DWORD dst_unused:UNUSED_PAD src0_sel:DWORD src1_sel:WORD_1
	v_fma_f16 v65, v63, v139, v65
	v_mul_f16_sdwa v63, v63, v139 dst_sel:DWORD dst_unused:UNUSED_PAD src0_sel:DWORD src1_sel:WORD_1
	v_fma_f16 v59, v77, v135, -v59
	v_fma_f16 v14, v14, v135, v60
	v_fma_f16 v63, v85, v139, -v63
	v_add_f16_e32 v66, v63, v59
	v_sub_f16_e32 v59, v63, v59
	v_add_f16_e32 v63, v65, v14
	v_sub_f16_e32 v14, v65, v14
	v_lshrrev_b32_e32 v65, 16, v87
	v_mul_f16_sdwa v67, v87, v141 dst_sel:DWORD dst_unused:UNUSED_PAD src0_sel:DWORD src1_sel:WORD_1
	v_fma_f16 v67, v65, v141, v67
	v_mul_f16_sdwa v65, v65, v141 dst_sel:DWORD dst_unused:UNUSED_PAD src0_sel:DWORD src1_sel:WORD_1
	v_add_f16_e32 v82, v82, v68
	v_fma_f16 v112, v74, s14, v112
	v_fma_f16 v113, v80, s14, v113
	v_fma_f16 v13, v75, v140, -v13
	v_fma_f16 v65, v87, v141, -v65
	v_sub_f16_e32 v60, v82, v113
	v_add_f16_e32 v61, v112, v111
	v_add_f16_e32 v68, v13, v65
	v_sub_f16_e32 v13, v65, v13
	v_add_f16_e32 v65, v12, v67
	v_add_f16_e32 v72, v63, v62
	;; [unrolled: 3-line block ×3, first 2 shown]
	v_pack_b32_f16 v60, v60, v61
	v_add_f16_e32 v67, v68, v67
	v_add_f16_sdwa v74, v72, v83 dst_sel:DWORD dst_unused:UNUSED_PAD src0_sel:DWORD src1_sel:WORD_1
	ds_write_b32 v209, v60 offset:168
	v_mul_u32_u24_e32 v60, 49, v124
	v_add_f16_e32 v114, v113, v82
	v_sub_f16_e32 v115, v111, v112
	v_add_f16_e32 v73, v67, v83
	v_lshlrev_b32_e32 v75, 16, v74
	v_add_lshl_u32 v191, v60, v125, 2
	v_sub_f16_e32 v60, v64, v68
	v_pack_b32_f16 v114, v114, v115
	v_or_b32_e32 v75, v75, v73
	v_fma_f16 v67, v67, s6, v73
	v_fma_f16 v72, v72, s6, v74
	v_sub_f16_e32 v61, v68, v66
	v_sub_f16_e32 v68, v62, v65
	;; [unrolled: 1-line block ×3, first 2 shown]
	v_add_f16_e32 v73, v13, v59
	v_sub_f16_e32 v74, v13, v59
	v_mul_f16_e32 v60, 0x3a52, v60
	v_sub_f16_e32 v64, v66, v64
	ds_write2_b32 v209, v78, v114 offset1:7
	v_sub_f16_e32 v13, v11, v13
	v_add_f16_e32 v76, v12, v14
	v_sub_f16_e32 v77, v12, v14
	v_add_f16_e32 v73, v73, v11
	v_mul_f16_e32 v68, 0x3a52, v68
	v_mul_f16_e32 v74, 0xb846, v74
	v_fma_f16 v78, v61, s12, v60
	v_sub_f16_e32 v62, v63, v62
	v_sub_f16_e32 v11, v59, v11
	v_fma_f16 v59, v64, s1, -v60
	v_mul_f16_e32 v60, 0x2b26, v65
	v_sub_f16_e32 v12, v9, v12
	v_add_f16_e32 v76, v76, v9
	v_mul_f16_e32 v77, 0xb846, v77
	v_sub_f16_e32 v9, v14, v9
	v_mul_f16_e32 v14, 0x2b26, v61
	v_fma_f16 v60, v62, s13, -v60
	v_fma_f16 v61, v62, s1, -v68
	;; [unrolled: 1-line block ×3, first 2 shown]
	v_mul_f16_e32 v11, 0xbb00, v11
	v_fma_f16 v81, v13, s7, v74
	v_fma_f16 v11, v13, s0, v11
	v_fma_f16 v13, v9, s15, -v77
	v_mul_f16_e32 v9, 0xbb00, v9
	v_fma_f16 v14, v64, s13, -v14
	v_fma_f16 v9, v12, s0, v9
	v_fma_f16 v82, v12, s7, v77
	v_add_f16_e32 v12, v14, v67
	v_add_f16_e32 v14, v59, v67
	;; [unrolled: 1-line block ×4, first 2 shown]
	v_fma_f16 v11, v73, s14, v11
	v_fma_f16 v9, v76, s14, v9
	;; [unrolled: 1-line block ×4, first 2 shown]
	v_add_f16_e32 v62, v9, v14
	v_sub_f16_e32 v63, v60, v11
	v_pack_b32_f16 v62, v62, v63
	v_sub_f16_e32 v63, v12, v13
	v_add_f16_e32 v12, v13, v12
	v_sub_f16_e32 v13, v59, v61
	v_sub_f16_e32 v9, v14, v9
	v_add_f16_e32 v11, v11, v60
	v_pack_b32_f16 v12, v12, v13
	v_pack_b32_f16 v9, v9, v11
	v_add_f16_e32 v64, v61, v59
	ds_write2_b32 v191, v12, v9 offset0:28 offset1:35
	v_lshrrev_b32_e32 v9, 16, v86
	s_waitcnt vmcnt(6)
	v_mul_f16_sdwa v12, v86, v143 dst_sel:DWORD dst_unused:UNUSED_PAD src0_sel:DWORD src1_sel:WORD_1
	v_pack_b32_f16 v63, v63, v64
	v_mul_f16_sdwa v11, v9, v143 dst_sel:DWORD dst_unused:UNUSED_PAD src0_sel:DWORD src1_sel:WORD_1
	v_fma_f16 v9, v9, v143, v12
	v_lshrrev_b32_e32 v12, 16, v88
	v_mul_f16_sdwa v14, v88, v145 dst_sel:DWORD dst_unused:UNUSED_PAD src0_sel:DWORD src1_sel:WORD_1
	ds_write2_b32 v191, v62, v63 offset0:14 offset1:21
	v_mul_f16_sdwa v13, v12, v145 dst_sel:DWORD dst_unused:UNUSED_PAD src0_sel:DWORD src1_sel:WORD_1
	v_fma_f16 v12, v12, v145, v14
	v_lshrrev_b32_e32 v14, 16, v104
	v_lshrrev_b32_e32 v62, 16, v105
	v_mul_f16_sdwa v63, v105, v142 dst_sel:DWORD dst_unused:UNUSED_PAD src0_sel:DWORD src1_sel:WORD_1
	v_mul_f16_sdwa v59, v14, v96 dst_sel:DWORD dst_unused:UNUSED_PAD src0_sel:DWORD src1_sel:WORD_1
	;; [unrolled: 1-line block ×3, first 2 shown]
	v_fma_f16 v63, v62, v142, v63
	v_mul_f16_sdwa v62, v62, v142 dst_sel:DWORD dst_unused:UNUSED_PAD src0_sel:DWORD src1_sel:WORD_1
	v_fma_f16 v59, v104, v96, -v59
	v_fma_f16 v14, v14, v96, v60
	v_fma_f16 v62, v105, v142, -v62
	v_fma_f16 v80, v65, s12, v68
	v_add_f16_e32 v64, v62, v59
	v_sub_f16_e32 v59, v62, v59
	v_add_f16_e32 v62, v63, v14
	v_sub_f16_e32 v14, v63, v14
	v_lshrrev_b32_e32 v63, 16, v109
	v_mul_f16_sdwa v65, v109, v95 dst_sel:DWORD dst_unused:UNUSED_PAD src0_sel:DWORD src1_sel:WORD_1
	v_fma_f16 v65, v63, v95, v65
	v_mul_f16_sdwa v63, v63, v95 dst_sel:DWORD dst_unused:UNUSED_PAD src0_sel:DWORD src1_sel:WORD_1
	v_fma_f16 v11, v86, v143, -v11
	v_fma_f16 v63, v109, v95, -v63
	v_add_f16_e32 v78, v78, v67
	v_add_f16_e32 v66, v11, v63
	v_sub_f16_e32 v11, v11, v63
	v_add_f16_e32 v63, v9, v65
	v_sub_f16_e32 v9, v9, v65
	v_lshrrev_b32_e32 v65, 16, v107
	v_mul_f16_sdwa v67, v107, v144 dst_sel:DWORD dst_unused:UNUSED_PAD src0_sel:DWORD src1_sel:WORD_1
	v_fma_f16 v67, v65, v144, v67
	v_mul_f16_sdwa v65, v65, v144 dst_sel:DWORD dst_unused:UNUSED_PAD src0_sel:DWORD src1_sel:WORD_1
	v_add_f16_e32 v80, v80, v72
	v_fma_f16 v81, v73, s14, v81
	v_fma_f16 v82, v76, s14, v82
	v_fma_f16 v13, v88, v145, -v13
	v_fma_f16 v65, v107, v144, -v65
	v_sub_f16_e32 v60, v78, v82
	v_add_f16_e32 v61, v81, v80
	v_add_f16_e32 v68, v65, v13
	v_sub_f16_e32 v13, v13, v65
	v_add_f16_e32 v65, v67, v12
	v_add_f16_e32 v72, v63, v62
	v_add_f16_e32 v83, v82, v78
	v_sub_f16_e32 v85, v80, v81
	v_sub_f16_e32 v12, v12, v67
	v_add_f16_e32 v67, v66, v64
	v_add_f16_e32 v72, v65, v72
	v_pack_b32_f16 v60, v60, v61
	v_pack_b32_f16 v83, v83, v85
	v_add_f16_e32 v67, v68, v67
	v_add_f16_sdwa v74, v72, v84 dst_sel:DWORD dst_unused:UNUSED_PAD src0_sel:DWORD src1_sel:WORD_1
	ds_write_b32 v191, v60 offset:168
	v_mul_u32_u24_e32 v60, 49, v126
	ds_write2_b32 v191, v75, v83 offset1:7
	v_add_f16_e32 v73, v67, v84
	v_lshlrev_b32_e32 v75, 16, v74
	v_add_lshl_u32 v192, v60, v127, 2
	v_sub_f16_e32 v60, v64, v68
	v_or_b32_e32 v75, v75, v73
	v_fma_f16 v67, v67, s6, v73
	v_fma_f16 v72, v72, s6, v74
	v_sub_f16_e32 v61, v68, v66
	v_sub_f16_e32 v68, v62, v65
	;; [unrolled: 1-line block ×3, first 2 shown]
	v_add_f16_e32 v73, v13, v11
	v_sub_f16_e32 v74, v13, v11
	v_mul_f16_e32 v60, 0x3a52, v60
	v_sub_f16_e32 v64, v66, v64
	v_sub_f16_e32 v13, v59, v13
	v_add_f16_e32 v76, v12, v9
	v_sub_f16_e32 v77, v12, v9
	v_add_f16_e32 v73, v73, v59
	v_mul_f16_e32 v68, 0x3a52, v68
	v_mul_f16_e32 v74, 0xb846, v74
	v_fma_f16 v78, v61, s12, v60
	v_sub_f16_e32 v62, v63, v62
	v_sub_f16_e32 v11, v11, v59
	v_fma_f16 v59, v64, s1, -v60
	v_mul_f16_e32 v60, 0x2b26, v65
	v_sub_f16_e32 v12, v14, v12
	v_add_f16_e32 v76, v76, v14
	v_mul_f16_e32 v77, 0xb846, v77
	v_sub_f16_e32 v9, v9, v14
	v_mul_f16_e32 v14, 0x2b26, v61
	v_fma_f16 v60, v62, s13, -v60
	v_fma_f16 v61, v62, s1, -v68
	;; [unrolled: 1-line block ×3, first 2 shown]
	v_mul_f16_e32 v11, 0xbb00, v11
	v_fma_f16 v81, v13, s7, v74
	v_fma_f16 v11, v13, s0, v11
	v_fma_f16 v13, v9, s15, -v77
	v_mul_f16_e32 v9, 0xbb00, v9
	v_fma_f16 v14, v64, s13, -v14
	v_fma_f16 v9, v12, s0, v9
	v_fma_f16 v82, v12, s7, v77
	v_add_f16_e32 v12, v14, v67
	v_add_f16_e32 v14, v59, v67
	;; [unrolled: 1-line block ×4, first 2 shown]
	v_fma_f16 v11, v73, s14, v11
	v_fma_f16 v9, v76, s14, v9
	;; [unrolled: 1-line block ×4, first 2 shown]
	v_add_f16_e32 v62, v9, v14
	v_sub_f16_e32 v63, v60, v11
	v_pack_b32_f16 v62, v62, v63
	v_sub_f16_e32 v63, v12, v13
	v_add_f16_e32 v64, v61, v59
	v_add_f16_e32 v12, v13, v12
	v_sub_f16_e32 v13, v59, v61
	v_sub_f16_e32 v9, v14, v9
	v_add_f16_e32 v11, v11, v60
	v_pack_b32_f16 v63, v63, v64
	v_pack_b32_f16 v12, v12, v13
	;; [unrolled: 1-line block ×3, first 2 shown]
	ds_write2_b32 v192, v62, v63 offset0:14 offset1:21
	ds_write2_b32 v192, v12, v9 offset0:28 offset1:35
	v_lshrrev_b32_e32 v9, 16, v106
	v_lshrrev_b32_e32 v62, 16, v48
	s_waitcnt vmcnt(5)
	v_mul_f16_sdwa v63, v48, v181 dst_sel:DWORD dst_unused:UNUSED_PAD src0_sel:DWORD src1_sel:WORD_1
	s_waitcnt vmcnt(4)
	v_mul_f16_sdwa v11, v9, v146 dst_sel:DWORD dst_unused:UNUSED_PAD src0_sel:DWORD src1_sel:WORD_1
	v_mul_f16_sdwa v12, v106, v146 dst_sel:DWORD dst_unused:UNUSED_PAD src0_sel:DWORD src1_sel:WORD_1
	v_fma_f16 v63, v62, v181, v63
	v_mul_f16_sdwa v62, v62, v181 dst_sel:DWORD dst_unused:UNUSED_PAD src0_sel:DWORD src1_sel:WORD_1
	v_fma_f16 v11, v106, v146, -v11
	v_fma_f16 v9, v9, v146, v12
	v_lshrrev_b32_e32 v12, 16, v108
	v_mul_f16_sdwa v14, v108, v148 dst_sel:DWORD dst_unused:UNUSED_PAD src0_sel:DWORD src1_sel:WORD_1
	v_fma_f16 v48, v48, v181, -v62
	v_mul_f16_sdwa v13, v12, v148 dst_sel:DWORD dst_unused:UNUSED_PAD src0_sel:DWORD src1_sel:WORD_1
	v_fma_f16 v12, v12, v148, v14
	v_lshrrev_b32_e32 v14, 16, v110
	v_add_f16_e32 v62, v11, v48
	v_sub_f16_e32 v11, v11, v48
	v_add_f16_e32 v48, v9, v63
	v_sub_f16_e32 v9, v9, v63
	v_lshrrev_b32_e32 v63, 16, v52
	v_mul_f16_sdwa v64, v52, v147 dst_sel:DWORD dst_unused:UNUSED_PAD src0_sel:DWORD src1_sel:WORD_1
	v_mul_f16_sdwa v59, v14, v180 dst_sel:DWORD dst_unused:UNUSED_PAD src0_sel:DWORD src1_sel:WORD_1
	;; [unrolled: 1-line block ×3, first 2 shown]
	v_fma_f16 v64, v63, v147, v64
	v_mul_f16_sdwa v63, v63, v147 dst_sel:DWORD dst_unused:UNUSED_PAD src0_sel:DWORD src1_sel:WORD_1
	v_fma_f16 v59, v110, v180, -v59
	v_fma_f16 v14, v14, v180, v60
	v_fma_f16 v52, v52, v147, -v63
	v_fma_f16 v80, v65, s12, v68
	v_add_f16_e32 v63, v52, v59
	v_sub_f16_e32 v52, v52, v59
	v_add_f16_e32 v59, v64, v14
	v_sub_f16_e32 v14, v64, v14
	v_lshrrev_b32_e32 v64, 16, v50
	v_mul_f16_sdwa v65, v50, v149 dst_sel:DWORD dst_unused:UNUSED_PAD src0_sel:DWORD src1_sel:WORD_1
	v_fma_f16 v65, v64, v149, v65
	v_mul_f16_sdwa v64, v64, v149 dst_sel:DWORD dst_unused:UNUSED_PAD src0_sel:DWORD src1_sel:WORD_1
	v_fma_f16 v13, v108, v148, -v13
	v_fma_f16 v50, v50, v149, -v64
	v_add_f16_e32 v64, v13, v50
	v_sub_f16_e32 v13, v50, v13
	v_add_f16_e32 v50, v12, v65
	v_sub_f16_e32 v12, v65, v12
	v_add_f16_e32 v65, v63, v62
	v_add_f16_e32 v66, v59, v48
	v_add_f16_e32 v78, v78, v67
	v_add_f16_e32 v80, v80, v72
	v_fma_f16 v81, v73, s14, v81
	v_fma_f16 v82, v76, s14, v82
	v_add_f16_e32 v65, v64, v65
	v_add_f16_e32 v66, v50, v66
	v_sub_f16_e32 v60, v78, v82
	v_add_f16_e32 v61, v81, v80
	v_add_f16_e32 v67, v65, v46
	v_add_f16_sdwa v46, v66, v46 dst_sel:DWORD dst_unused:UNUSED_PAD src0_sel:DWORD src1_sel:WORD_1
	v_lshlrev_b32_e32 v68, 16, v46
	v_pack_b32_f16 v60, v60, v61
	v_or_b32_e32 v68, v68, v67
	v_fma_f16 v65, v65, s6, v67
	v_fma_f16 v46, v66, s6, v46
	ds_write_b32 v192, v60 offset:168
	v_mul_u32_u24_e32 v60, 49, v70
	v_add_f16_e32 v66, v13, v52
	v_sub_f16_e32 v67, v13, v52
	v_add_lshl_u32 v193, v60, v71, 2
	v_sub_f16_e32 v60, v62, v64
	v_sub_f16_e32 v61, v64, v63
	;; [unrolled: 1-line block ×4, first 2 shown]
	v_add_f16_e32 v70, v12, v14
	v_sub_f16_e32 v71, v12, v14
	v_add_f16_e32 v66, v66, v11
	v_mul_f16_e32 v67, 0xb846, v67
	v_sub_f16_e32 v11, v52, v11
	v_sub_f16_e32 v50, v50, v59
	v_sub_f16_e32 v12, v9, v12
	v_add_f16_e32 v70, v70, v9
	v_mul_f16_e32 v64, 0x3a52, v64
	v_mul_f16_e32 v71, 0xb846, v71
	v_sub_f16_e32 v48, v59, v48
	v_sub_f16_e32 v9, v14, v9
	v_fma_f16 v59, v11, s15, -v67
	v_mul_f16_e32 v11, 0xbb00, v11
	v_add_f16_e32 v83, v82, v78
	v_sub_f16_e32 v84, v80, v81
	v_mul_f16_e32 v60, 0x3a52, v60
	v_fma_f16 v73, v50, s12, v64
	v_fma_f16 v74, v13, s7, v67
	v_sub_f16_e32 v62, v63, v62
	v_mul_f16_e32 v14, 0x2b26, v61
	v_mul_f16_e32 v50, 0x2b26, v50
	v_fma_f16 v11, v13, s0, v11
	v_fma_f16 v13, v9, s15, -v71
	v_mul_f16_e32 v9, 0xbb00, v9
	v_pack_b32_f16 v83, v83, v84
	v_fma_f16 v14, v62, s13, -v14
	v_fma_f16 v52, v62, s1, -v60
	;; [unrolled: 1-line block ×4, first 2 shown]
	v_fma_f16 v9, v12, s0, v9
	ds_write2_b32 v192, v75, v83 offset1:7
	v_add_f16_e32 v73, v73, v46
	v_fma_f16 v75, v12, s7, v71
	v_add_f16_e32 v12, v14, v65
	v_add_f16_e32 v14, v52, v65
	;; [unrolled: 1-line block ×4, first 2 shown]
	v_fma_f16 v11, v66, s14, v11
	v_fma_f16 v9, v70, s14, v9
	;; [unrolled: 1-line block ×4, first 2 shown]
	v_add_f16_e32 v52, v9, v14
	v_sub_f16_e32 v59, v46, v11
	v_pack_b32_f16 v52, v52, v59
	v_sub_f16_e32 v59, v12, v13
	v_add_f16_e32 v12, v13, v12
	v_sub_f16_e32 v13, v50, v48
	v_sub_f16_e32 v9, v14, v9
	v_add_f16_e32 v11, v11, v46
	v_pack_b32_f16 v12, v12, v13
	v_pack_b32_f16 v9, v9, v11
	ds_write2_b32 v193, v12, v9 offset0:28 offset1:35
	v_lshrrev_b32_e32 v9, 16, v53
	s_waitcnt vmcnt(2)
	v_mul_f16_sdwa v12, v53, v151 dst_sel:DWORD dst_unused:UNUSED_PAD src0_sel:DWORD src1_sel:WORD_1
	v_mul_f16_sdwa v11, v9, v151 dst_sel:DWORD dst_unused:UNUSED_PAD src0_sel:DWORD src1_sel:WORD_1
	v_fma_f16 v9, v9, v151, v12
	v_lshrrev_b32_e32 v12, 16, v51
	v_mul_f16_sdwa v13, v12, v153 dst_sel:DWORD dst_unused:UNUSED_PAD src0_sel:DWORD src1_sel:WORD_1
	v_mul_f16_sdwa v14, v51, v153 dst_sel:DWORD dst_unused:UNUSED_PAD src0_sel:DWORD src1_sel:WORD_1
	v_fma_f16 v72, v61, s12, v60
	v_add_f16_e32 v60, v48, v50
	v_fma_f16 v13, v51, v153, -v13
	v_fma_f16 v12, v12, v153, v14
	v_lshrrev_b32_e32 v14, 16, v49
	v_lshrrev_b32_e32 v50, 16, v44
	v_mul_f16_sdwa v51, v44, v150 dst_sel:DWORD dst_unused:UNUSED_PAD src0_sel:DWORD src1_sel:WORD_1
	v_mul_f16_sdwa v46, v14, v163 dst_sel:DWORD dst_unused:UNUSED_PAD src0_sel:DWORD src1_sel:WORD_1
	;; [unrolled: 1-line block ×3, first 2 shown]
	v_fma_f16 v51, v50, v150, v51
	v_mul_f16_sdwa v50, v50, v150 dst_sel:DWORD dst_unused:UNUSED_PAD src0_sel:DWORD src1_sel:WORD_1
	v_pack_b32_f16 v59, v59, v60
	v_fma_f16 v46, v49, v163, -v46
	v_fma_f16 v14, v14, v163, v48
	v_fma_f16 v44, v44, v150, -v50
	ds_write2_b32 v193, v52, v59 offset0:14 offset1:21
	v_add_f16_e32 v50, v44, v46
	v_sub_f16_e32 v44, v44, v46
	v_add_f16_e32 v46, v51, v14
	v_sub_f16_e32 v14, v51, v14
	v_lshrrev_b32_e32 v51, 16, v36
	v_mul_f16_sdwa v52, v36, v162 dst_sel:DWORD dst_unused:UNUSED_PAD src0_sel:DWORD src1_sel:WORD_1
	v_fma_f16 v52, v51, v162, v52
	v_mul_f16_sdwa v51, v51, v162 dst_sel:DWORD dst_unused:UNUSED_PAD src0_sel:DWORD src1_sel:WORD_1
	v_fma_f16 v11, v53, v151, -v11
	v_fma_f16 v36, v36, v162, -v51
	v_add_f16_e32 v51, v11, v36
	v_sub_f16_e32 v11, v11, v36
	v_add_f16_e32 v36, v9, v52
	v_sub_f16_e32 v9, v9, v52
	v_lshrrev_b32_e32 v52, 16, v38
	v_mul_f16_sdwa v53, v38, v152 dst_sel:DWORD dst_unused:UNUSED_PAD src0_sel:DWORD src1_sel:WORD_1
	v_fma_f16 v53, v52, v152, v53
	v_mul_f16_sdwa v52, v52, v152 dst_sel:DWORD dst_unused:UNUSED_PAD src0_sel:DWORD src1_sel:WORD_1
	v_fma_f16 v38, v38, v152, -v52
	v_add_f16_e32 v52, v38, v13
	v_sub_f16_e32 v13, v13, v38
	v_add_f16_e32 v38, v53, v12
	v_sub_f16_e32 v12, v12, v53
	v_add_f16_e32 v53, v51, v50
	v_add_f16_e32 v59, v36, v46
	;; [unrolled: 1-line block ×5, first 2 shown]
	v_fma_f16 v74, v66, s14, v74
	v_fma_f16 v75, v70, s14, v75
	v_add_f16_e32 v60, v53, v47
	v_add_f16_sdwa v47, v59, v47 dst_sel:DWORD dst_unused:UNUSED_PAD src0_sel:DWORD src1_sel:WORD_1
	v_sub_f16_e32 v48, v72, v75
	v_add_f16_e32 v49, v74, v73
	v_lshlrev_b32_e32 v61, 16, v47
	v_or_b32_e32 v61, v61, v60
	v_fma_f16 v53, v53, s6, v60
	v_pack_b32_f16 v48, v48, v49
	v_sub_f16_e32 v60, v13, v11
	v_fma_f16 v47, v59, s6, v47
	ds_write_b32 v193, v48 offset:168
	v_sub_f16_e32 v48, v50, v52
	v_sub_f16_e32 v49, v52, v51
	;; [unrolled: 1-line block ×3, first 2 shown]
	v_add_f16_e32 v59, v13, v11
	v_sub_f16_e32 v63, v12, v9
	v_mul_f16_e32 v60, 0xb846, v60
	v_sub_f16_e32 v11, v11, v44
	v_mad_legacy_u16 v15, v15, 49, v69
	v_sub_f16_e32 v38, v38, v36
	v_sub_f16_e32 v13, v44, v13
	v_add_f16_e32 v62, v12, v9
	v_add_f16_e32 v59, v59, v44
	v_mul_f16_e32 v52, 0x3a52, v52
	v_mul_f16_e32 v63, 0xb846, v63
	v_sub_f16_e32 v9, v9, v14
	v_fma_f16 v44, v11, s15, -v60
	v_mul_f16_e32 v11, 0xbb00, v11
	v_sub_f16_e32 v12, v14, v12
	v_add_f16_e32 v62, v62, v14
	v_mul_f16_e32 v48, 0x3a52, v48
	v_fma_f16 v65, v38, s12, v52
	v_fma_f16 v66, v13, s7, v60
	v_lshlrev_b32_e32 v190, 2, v15
	v_sub_f16_e32 v15, v51, v50
	v_sub_f16_e32 v36, v36, v46
	v_mul_f16_e32 v14, 0x2b26, v49
	v_mul_f16_e32 v38, 0x2b26, v38
	v_fma_f16 v11, v13, s0, v11
	v_fma_f16 v13, v9, s15, -v63
	v_mul_f16_e32 v9, 0xbb00, v9
	v_fma_f16 v14, v15, s13, -v14
	v_fma_f16 v15, v15, s1, -v48
	;; [unrolled: 1-line block ×4, first 2 shown]
	v_fma_f16 v9, v12, s0, v9
	v_fma_f16 v67, v12, s7, v63
	v_add_f16_e32 v12, v14, v53
	v_add_f16_e32 v14, v15, v53
	;; [unrolled: 1-line block ×3, first 2 shown]
	v_fma_f16 v11, v59, s14, v11
	v_fma_f16 v9, v62, s14, v9
	v_add_f16_e32 v15, v38, v47
	v_fma_f16 v38, v59, s14, v44
	v_fma_f16 v13, v62, s14, v13
	v_add_f16_e32 v44, v9, v14
	v_sub_f16_e32 v46, v36, v11
	v_add_f16_e32 v76, v75, v72
	v_sub_f16_e32 v77, v73, v74
	v_pack_b32_f16 v44, v44, v46
	v_sub_f16_e32 v46, v12, v13
	v_add_f16_e32 v12, v13, v12
	v_sub_f16_e32 v13, v15, v38
	v_sub_f16_e32 v9, v14, v9
	v_add_f16_e32 v11, v11, v36
	v_pack_b32_f16 v76, v76, v77
	v_pack_b32_f16 v12, v12, v13
	;; [unrolled: 1-line block ×3, first 2 shown]
	ds_write2_b32 v193, v68, v76 offset1:7
	ds_write2_b32 v190, v12, v9 offset0:28 offset1:35
	v_lshrrev_b32_e32 v9, 16, v45
	s_waitcnt vmcnt(0)
	v_mul_f16_sdwa v12, v45, v154 dst_sel:DWORD dst_unused:UNUSED_PAD src0_sel:DWORD src1_sel:WORD_1
	v_mul_f16_sdwa v11, v9, v154 dst_sel:DWORD dst_unused:UNUSED_PAD src0_sel:DWORD src1_sel:WORD_1
	v_fma_f16 v9, v9, v154, v12
	v_lshrrev_b32_e32 v12, 16, v7
	v_mul_f16_sdwa v13, v12, v155 dst_sel:DWORD dst_unused:UNUSED_PAD src0_sel:DWORD src1_sel:WORD_1
	v_fma_f16 v13, v7, v155, -v13
	v_mul_f16_sdwa v7, v7, v155 dst_sel:DWORD dst_unused:UNUSED_PAD src0_sel:DWORD src1_sel:WORD_1
	v_add_f16_e32 v65, v65, v47
	v_add_f16_e32 v47, v38, v15
	v_fma_f16 v7, v12, v155, v7
	v_lshrrev_b32_e32 v12, 16, v39
	v_mul_f16_sdwa v15, v39, v156 dst_sel:DWORD dst_unused:UNUSED_PAD src0_sel:DWORD src1_sel:WORD_1
	v_mul_f16_sdwa v14, v12, v156 dst_sel:DWORD dst_unused:UNUSED_PAD src0_sel:DWORD src1_sel:WORD_1
	v_fma_f16 v12, v12, v156, v15
	v_lshrrev_b32_e32 v15, 16, v6
	v_mul_f16_sdwa v36, v15, v157 dst_sel:DWORD dst_unused:UNUSED_PAD src0_sel:DWORD src1_sel:WORD_1
	v_fma_f16 v36, v6, v157, -v36
	v_mul_f16_sdwa v6, v6, v157 dst_sel:DWORD dst_unused:UNUSED_PAD src0_sel:DWORD src1_sel:WORD_1
	v_fma_f16 v6, v15, v157, v6
	v_lshrrev_b32_e32 v15, 16, v37
	v_mul_f16_sdwa v38, v15, v166 dst_sel:DWORD dst_unused:UNUSED_PAD src0_sel:DWORD src1_sel:WORD_1
	v_fma_f16 v38, v37, v166, -v38
	v_mul_f16_sdwa v37, v37, v166 dst_sel:DWORD dst_unused:UNUSED_PAD src0_sel:DWORD src1_sel:WORD_1
	v_fma_f16 v15, v15, v166, v37
	v_lshrrev_b32_e32 v37, 16, v10
	v_fma_f16 v14, v39, v156, -v14
	v_mul_f16_sdwa v39, v37, v167 dst_sel:DWORD dst_unused:UNUSED_PAD src0_sel:DWORD src1_sel:WORD_1
	v_fma_f16 v39, v10, v167, -v39
	v_mul_f16_sdwa v10, v10, v167 dst_sel:DWORD dst_unused:UNUSED_PAD src0_sel:DWORD src1_sel:WORD_1
	v_fma_f16 v11, v45, v154, -v11
	v_fma_f16 v10, v37, v167, v10
	v_pack_b32_f16 v46, v46, v47
	v_add_f16_e32 v45, v11, v39
	v_sub_f16_e32 v11, v11, v39
	v_add_f16_e32 v39, v9, v10
	v_sub_f16_e32 v9, v9, v10
	;; [unrolled: 2-line block ×3, first 2 shown]
	v_add_f16_e32 v38, v7, v15
	v_fma_f16 v64, v49, s12, v48
	ds_write2_b32 v190, v44, v46 offset0:14 offset1:21
	v_sub_f16_e32 v7, v7, v15
	v_add_f16_e32 v15, v14, v36
	v_sub_f16_e32 v14, v36, v14
	v_add_f16_e32 v36, v12, v6
	;; [unrolled: 2-line block ×3, first 2 shown]
	v_add_f16_e32 v46, v38, v39
	v_add_f16_e32 v64, v64, v53
	v_fma_f16 v66, v59, s14, v66
	v_fma_f16 v67, v62, s14, v67
	v_add_f16_e32 v12, v15, v12
	v_add_f16_e32 v46, v36, v46
	v_sub_f16_e32 v37, v64, v67
	v_add_f16_e32 v44, v66, v65
	v_add_f16_e32 v47, v12, v4
	v_add_f16_sdwa v4, v46, v4 dst_sel:DWORD dst_unused:UNUSED_PAD src0_sel:DWORD src1_sel:WORD_1
	v_lshlrev_b32_e32 v48, 16, v4
	v_fma_f16 v4, v46, s6, v4
	v_pack_b32_f16 v37, v37, v44
	v_add_f16_e32 v44, v14, v13
	v_sub_f16_e32 v46, v14, v13
	v_or_b32_e32 v48, v48, v47
	v_fma_f16 v12, v12, s6, v47
	v_mad_legacy_u16 v5, v5, 49, v8
	v_sub_f16_e32 v8, v45, v15
	v_sub_f16_e32 v15, v15, v10
	;; [unrolled: 1-line block ×3, first 2 shown]
	v_add_f16_e32 v47, v6, v7
	v_sub_f16_e32 v49, v6, v7
	v_add_f16_e32 v44, v44, v11
	v_mul_f16_e32 v46, 0xb846, v46
	v_sub_f16_e32 v11, v13, v11
	ds_write_b32 v190, v37 offset:168
	v_sub_f16_e32 v37, v39, v36
	v_sub_f16_e32 v36, v36, v38
	;; [unrolled: 1-line block ×3, first 2 shown]
	v_add_f16_e32 v47, v47, v9
	v_mul_f16_e32 v8, 0x3a52, v8
	v_mul_f16_e32 v49, 0xb846, v49
	v_lshlrev_b32_e32 v217, 2, v5
	v_sub_f16_e32 v5, v10, v45
	v_sub_f16_e32 v7, v7, v9
	v_mul_f16_e32 v9, 0x2b26, v15
	v_fma_f16 v13, v11, s15, -v46
	v_mul_f16_e32 v11, 0xbb00, v11
	v_mul_f16_e32 v37, 0x3a52, v37
	v_fma_f16 v50, v15, s12, v8
	v_fma_f16 v52, v14, s7, v46
	v_sub_f16_e32 v10, v38, v39
	v_fma_f16 v9, v5, s13, -v9
	v_fma_f16 v5, v5, s1, -v8
	v_mul_f16_e32 v8, 0x2b26, v36
	v_fma_f16 v11, v14, s0, v11
	v_fma_f16 v14, v7, s15, -v49
	v_mul_f16_e32 v7, 0xbb00, v7
	v_fma_f16 v51, v36, s12, v37
	v_fma_f16 v53, v6, s7, v49
	v_fma_f16 v8, v10, s13, -v8
	v_fma_f16 v10, v10, s1, -v37
	v_fma_f16 v6, v6, s0, v7
	v_add_f16_e32 v68, v67, v64
	v_sub_f16_e32 v69, v65, v66
	v_add_f16_e32 v50, v50, v12
	v_add_f16_e32 v51, v51, v4
	v_fma_f16 v52, v44, s14, v52
	v_fma_f16 v53, v47, s14, v53
	v_add_f16_e32 v5, v5, v12
	v_add_f16_e32 v8, v8, v4
	;; [unrolled: 1-line block ×3, first 2 shown]
	v_fma_f16 v10, v44, s14, v11
	v_fma_f16 v6, v47, s14, v6
	v_pack_b32_f16 v68, v68, v69
	v_add_f16_e32 v59, v53, v50
	v_sub_f16_e32 v60, v51, v52
	v_add_f16_e32 v7, v9, v12
	v_fma_f16 v9, v44, s14, v13
	v_fma_f16 v11, v47, s14, v14
	v_add_f16_e32 v12, v6, v5
	v_sub_f16_e32 v13, v4, v10
	ds_write2_b32 v190, v61, v68 offset1:7
	v_pack_b32_f16 v59, v59, v60
	v_pack_b32_f16 v12, v12, v13
	v_sub_f16_e32 v13, v7, v11
	v_add_f16_e32 v14, v9, v8
	v_add_f16_e32 v7, v11, v7
	v_sub_f16_e32 v8, v8, v9
	v_sub_f16_e32 v5, v5, v6
	v_add_f16_e32 v4, v10, v4
	v_mad_u64_u32 v[60:61], s[16:17], v1, 24, s[2:3]
	v_pack_b32_f16 v6, v7, v8
	v_pack_b32_f16 v4, v5, v4
	ds_write2_b32 v217, v6, v4 offset0:28 offset1:35
	v_sub_f16_e32 v4, v50, v53
	v_add_f16_e32 v5, v52, v51
	v_pack_b32_f16 v13, v13, v14
	v_pack_b32_f16 v4, v4, v5
	ds_write2_b32 v217, v48, v59 offset1:7
	ds_write2_b32 v217, v12, v13 offset0:14 offset1:21
	ds_write_b32 v217, v4 offset:168
	s_waitcnt lgkmcnt(0)
	; wave barrier
	s_waitcnt lgkmcnt(0)
	global_load_dwordx4 v[12:15], v[60:61], off offset:168
	global_load_dwordx2 v[211:212], v[60:61], off offset:184
	s_movk_i32 s16, 0x4f
	v_mul_lo_u16_sdwa v4, v54, s16 dst_sel:DWORD dst_unused:UNUSED_PAD src0_sel:BYTE_0 src1_sel:DWORD
	v_sub_u16_sdwa v5, v54, v4 dst_sel:DWORD dst_unused:UNUSED_PAD src0_sel:DWORD src1_sel:BYTE_1
	v_lshrrev_b16_e32 v5, 1, v5
	v_and_b32_e32 v5, 0x7f, v5
	v_add_u16_sdwa v4, v5, v4 dst_sel:DWORD dst_unused:UNUSED_PAD src0_sel:DWORD src1_sel:BYTE_1
	v_lshrrev_b16_e32 v4, 5, v4
	v_mul_lo_u16_e32 v4, 49, v4
	v_sub_u16_e32 v44, v54, v4
	v_mul_lo_u16_sdwa v4, v55, s16 dst_sel:DWORD dst_unused:UNUSED_PAD src0_sel:BYTE_0 src1_sel:DWORD
	v_sub_u16_sdwa v5, v55, v4 dst_sel:DWORD dst_unused:UNUSED_PAD src0_sel:DWORD src1_sel:BYTE_1
	v_lshrrev_b16_e32 v5, 1, v5
	v_and_b32_e32 v5, 0x7f, v5
	v_add_u16_sdwa v4, v5, v4 dst_sel:DWORD dst_unused:UNUSED_PAD src0_sel:DWORD src1_sel:BYTE_1
	v_lshrrev_b16_e32 v4, 5, v4
	v_mul_lo_u16_e32 v4, 49, v4
	v_sub_u16_e32 v45, v55, v4
	v_mul_lo_u16_sdwa v4, v56, s16 dst_sel:DWORD dst_unused:UNUSED_PAD src0_sel:BYTE_0 src1_sel:DWORD
	v_sub_u16_sdwa v5, v56, v4 dst_sel:DWORD dst_unused:UNUSED_PAD src0_sel:DWORD src1_sel:BYTE_1
	v_lshrrev_b16_e32 v5, 1, v5
	v_and_b32_e32 v5, 0x7f, v5
	v_add_u16_sdwa v4, v5, v4 dst_sel:DWORD dst_unused:UNUSED_PAD src0_sel:DWORD src1_sel:BYTE_1
	v_lshrrev_b16_e32 v4, 5, v4
	v_mul_lo_u16_e32 v4, 49, v4
	s_movk_i32 s16, 0x4e5f
	v_sub_u16_e32 v46, v56, v4
	v_mul_u32_u24_sdwa v4, v58, s16 dst_sel:DWORD dst_unused:UNUSED_PAD src0_sel:WORD_0 src1_sel:DWORD
	v_sub_u16_sdwa v5, v58, v4 dst_sel:DWORD dst_unused:UNUSED_PAD src0_sel:DWORD src1_sel:WORD_1
	v_lshrrev_b16_e32 v5, 1, v5
	v_add_u16_sdwa v4, v5, v4 dst_sel:DWORD dst_unused:UNUSED_PAD src0_sel:DWORD src1_sel:WORD_1
	v_lshrrev_b16_e32 v4, 5, v4
	v_mul_lo_u16_e32 v4, 49, v4
	v_sub_u16_e32 v83, v58, v4
	v_mul_u32_u24_sdwa v4, v57, s16 dst_sel:DWORD dst_unused:UNUSED_PAD src0_sel:WORD_0 src1_sel:DWORD
	v_sub_u16_sdwa v5, v57, v4 dst_sel:DWORD dst_unused:UNUSED_PAD src0_sel:DWORD src1_sel:WORD_1
	v_lshrrev_b16_e32 v5, 1, v5
	v_add_u16_sdwa v4, v5, v4 dst_sel:DWORD dst_unused:UNUSED_PAD src0_sel:DWORD src1_sel:WORD_1
	v_lshrrev_b16_e32 v4, 5, v4
	v_mul_lo_u16_e32 v4, 49, v4
	v_sub_u16_e32 v11, v57, v4
	v_mul_lo_u16_e32 v4, 24, v83
	v_mov_b32_e32 v6, s3
	v_add_co_u32_e32 v36, vcc, s2, v4
	ds_read2_b32 v[4:5], v194 offset0:38 offset1:87
	v_addc_co_u32_e32 v37, vcc, 0, v6, vcc
	v_mul_lo_u16_e32 v7, 24, v11
	v_add_co_u32_e32 v38, vcc, s2, v7
	ds_read2_b32 v[7:8], v183 offset0:10 offset1:59
	v_addc_co_u32_e32 v39, vcc, 0, v6, vcc
	s_waitcnt lgkmcnt(1)
	v_lshrrev_b32_e32 v6, 16, v5
	ds_read2_b32 v[63:64], v188 offset0:92 offset1:141
	v_and_b32_e32 v82, 0xff, v44
	v_and_b32_e32 v133, 0xff, v45
	v_mad_u64_u32 v[44:45], s[16:17], v82, 24, s[2:3]
	v_and_b32_e32 v80, 0xff, v46
	v_lshlrev_b32_e32 v0, 2, v82
	v_add_u32_e32 v1, 0x800, v0
	v_lshlrev_b32_e32 v11, 2, v11
	s_waitcnt vmcnt(1)
	v_mul_f16_sdwa v9, v5, v12 dst_sel:DWORD dst_unused:UNUSED_PAD src0_sel:DWORD src1_sel:WORD_1
	v_fma_f16 v47, v6, v12, v9
	v_mul_f16_sdwa v6, v6, v12 dst_sel:DWORD dst_unused:UNUSED_PAD src0_sel:DWORD src1_sel:WORD_1
	v_fma_f16 v5, v5, v12, -v6
	s_waitcnt lgkmcnt(1)
	v_lshrrev_b32_e32 v6, 16, v7
	s_waitcnt vmcnt(0)
	v_mul_f16_sdwa v9, v7, v212 dst_sel:DWORD dst_unused:UNUSED_PAD src0_sel:DWORD src1_sel:WORD_1
	v_fma_f16 v48, v6, v212, v9
	v_mul_f16_sdwa v6, v6, v212 dst_sel:DWORD dst_unused:UNUSED_PAD src0_sel:DWORD src1_sel:WORD_1
	ds_read2_b32 v[9:10], v185 offset0:174 offset1:223
	v_fma_f16 v6, v7, v212, -v6
	v_add_f16_e32 v85, v5, v6
	v_sub_f16_e32 v84, v5, v6
	ds_read2_b32 v[5:6], v186 offset0:130 offset1:179
	v_add_f16_e32 v113, v47, v48
	v_sub_f16_e32 v86, v47, v48
	s_waitcnt lgkmcnt(1)
	v_lshrrev_b32_e32 v7, 16, v9
	v_mul_f16_sdwa v47, v9, v13 dst_sel:DWORD dst_unused:UNUSED_PAD src0_sel:DWORD src1_sel:WORD_1
	v_fma_f16 v47, v7, v13, v47
	v_mul_f16_sdwa v7, v7, v13 dst_sel:DWORD dst_unused:UNUSED_PAD src0_sel:DWORD src1_sel:WORD_1
	v_fma_f16 v9, v9, v13, -v7
	s_waitcnt lgkmcnt(0)
	v_lshrrev_b32_e32 v7, 16, v6
	v_mul_f16_sdwa v48, v6, v211 dst_sel:DWORD dst_unused:UNUSED_PAD src0_sel:DWORD src1_sel:WORD_1
	v_fma_f16 v48, v7, v211, v48
	v_mul_f16_sdwa v7, v7, v211 dst_sel:DWORD dst_unused:UNUSED_PAD src0_sel:DWORD src1_sel:WORD_1
	v_fma_f16 v49, v6, v211, -v7
	ds_read2_b32 v[6:7], v128 offset0:84 offset1:133
	v_add_f16_e32 v116, v47, v48
	v_sub_f16_e32 v115, v47, v48
	v_add_f16_e32 v114, v9, v49
	v_sub_f16_e32 v9, v9, v49
	s_waitcnt lgkmcnt(0)
	v_lshrrev_b32_e32 v47, 16, v7
	v_mul_f16_sdwa v48, v7, v14 dst_sel:DWORD dst_unused:UNUSED_PAD src0_sel:DWORD src1_sel:WORD_1
	v_fma_f16 v48, v47, v14, v48
	v_mul_f16_sdwa v47, v47, v14 dst_sel:DWORD dst_unused:UNUSED_PAD src0_sel:DWORD src1_sel:WORD_1
	v_fma_f16 v7, v7, v14, -v47
	v_lshrrev_b32_e32 v47, 16, v63
	v_mul_f16_sdwa v49, v63, v15 dst_sel:DWORD dst_unused:UNUSED_PAD src0_sel:DWORD src1_sel:WORD_1
	v_fma_f16 v49, v47, v15, v49
	v_mul_f16_sdwa v47, v47, v15 dst_sel:DWORD dst_unused:UNUSED_PAD src0_sel:DWORD src1_sel:WORD_1
	v_fma_f16 v47, v63, v15, -v47
	ds_read2_b32 v[62:63], v134 offset1:49
	v_add_f16_e32 v50, v7, v47
	v_sub_f16_e32 v7, v47, v7
	v_add_f16_e32 v47, v48, v49
	v_sub_f16_e32 v48, v49, v48
	v_add_f16_e32 v49, v114, v85
	v_add_f16_e32 v49, v50, v49
	v_add_f16_e32 v51, v116, v113
	v_add_f16_e32 v51, v47, v51
	s_waitcnt lgkmcnt(0)
	v_add_f16_e32 v52, v49, v62
	v_add_f16_sdwa v53, v51, v62 dst_sel:DWORD dst_unused:UNUSED_PAD src0_sel:DWORD src1_sel:WORD_1
	v_fma_f16 v119, v49, s6, v52
	v_sub_f16_e32 v49, v85, v50
	v_fma_f16 v118, v51, s6, v53
	v_sub_f16_e32 v128, v50, v114
	v_sub_f16_e32 v50, v113, v47
	;; [unrolled: 1-line block ×3, first 2 shown]
	v_add_f16_e32 v47, v7, v9
	v_sub_f16_e32 v51, v7, v9
	v_sub_f16_e32 v125, v84, v7
	v_add_f16_e32 v7, v48, v115
	v_mul_f16_e32 v132, 0x3a52, v49
	v_lshlrev_b32_e32 v54, 16, v53
	v_add_f16_e32 v122, v7, v86
	v_mul_f16_e32 v130, 0x3a52, v50
	v_fma_f16 v7, v128, s12, v132
	v_or_b32_e32 v124, v54, v52
	v_sub_f16_e32 v52, v48, v115
	v_mul_f16_e32 v131, 0xb846, v51
	v_add_f16_e32 v62, v7, v119
	v_fma_f16 v7, v127, s12, v130
	v_sub_f16_e32 v126, v86, v48
	v_add_f16_e32 v123, v47, v84
	v_mul_f16_e32 v129, 0xb846, v52
	v_add_f16_e32 v117, v7, v118
	v_fma_f16 v7, v125, s7, v131
	v_fma_f16 v120, v123, s14, v7
	;; [unrolled: 1-line block ×4, first 2 shown]
	v_add_f16_e32 v7, v121, v62
	v_sub_f16_e32 v47, v117, v120
	v_pack_b32_f16 v81, v7, v47
	v_mad_u64_u32 v[46:47], s[16:17], v133, 24, s[2:3]
	v_mad_u64_u32 v[48:49], s[16:17], v80, 24, s[2:3]
	ds_read_b32 v7, v134 offset:9408
	global_load_dwordx2 v[111:112], v[44:45], off offset:184
	global_load_dwordx4 v[56:59], v[44:45], off offset:168
	global_load_dwordx2 v[164:165], v[46:47], off offset:184
	global_load_dwordx4 v[52:55], v[46:47], off offset:168
	global_load_dwordx2 v[168:169], v[48:49], off offset:184
	s_nop 0
	global_load_dwordx4 v[48:51], v[48:49], off offset:168
	s_nop 0
	global_load_dwordx2 v[172:173], v[36:37], off offset:184
	global_load_dwordx4 v[44:47], v[36:37], off offset:168
	global_load_dwordx2 v[215:216], v[38:39], off offset:184
	global_load_dwordx4 v[99:102], v[38:39], off offset:168
	v_sub_f16_e32 v9, v9, v84
	v_sub_f16_e32 v84, v115, v86
	ds_read2_b32 v[197:198], v194 offset0:136 offset1:185
	ds_read2_b32 v[218:219], v187 offset0:54 offset1:103
	;; [unrolled: 1-line block ×17, first 2 shown]
	s_waitcnt lgkmcnt(0)
	; wave barrier
	s_waitcnt lgkmcnt(0)
	ds_write2_b32 v134, v124, v81 offset1:49
	v_sub_f16_e32 v81, v114, v85
	v_sub_f16_e32 v85, v116, v113
	v_mul_f16_e32 v86, 0x2b26, v128
	v_mul_f16_e32 v113, 0x2b26, v127
	v_fma_f16 v114, v9, s15, -v131
	v_mul_f16_e32 v9, 0xbb00, v9
	v_fma_f16 v115, v84, s15, -v129
	;; [unrolled: 2-line block ×3, first 2 shown]
	v_fma_f16 v81, v81, s1, -v132
	v_fma_f16 v113, v85, s13, -v113
	;; [unrolled: 1-line block ×3, first 2 shown]
	v_fma_f16 v9, v125, s0, v9
	v_fma_f16 v84, v126, s0, v84
	v_add_f16_e32 v81, v81, v119
	v_add_f16_e32 v85, v85, v118
	v_fma_f16 v9, v123, s14, v9
	v_fma_f16 v84, v122, s14, v84
	v_add_f16_e32 v86, v86, v119
	v_add_f16_e32 v113, v113, v118
	v_fma_f16 v114, v123, s14, v114
	v_fma_f16 v115, v122, s14, v115
	v_add_f16_e32 v116, v84, v81
	v_sub_f16_e32 v118, v85, v9
	v_pack_b32_f16 v116, v116, v118
	v_sub_f16_e32 v118, v86, v115
	v_add_f16_e32 v119, v114, v113
	v_add_f16_e32 v86, v115, v86
	v_sub_f16_e32 v113, v113, v114
	v_sub_f16_e32 v81, v81, v84
	v_add_f16_e32 v9, v9, v85
	v_pack_b32_f16 v84, v86, v113
	v_pack_b32_f16 v9, v81, v9
	ds_write2_b32 v134, v84, v9 offset0:196 offset1:245
	v_lshrrev_b32_e32 v9, 16, v10
	v_mul_f16_sdwa v81, v9, v13 dst_sel:DWORD dst_unused:UNUSED_PAD src0_sel:DWORD src1_sel:WORD_1
	v_fma_f16 v81, v10, v13, -v81
	v_mul_f16_sdwa v10, v10, v13 dst_sel:DWORD dst_unused:UNUSED_PAD src0_sel:DWORD src1_sel:WORD_1
	v_fma_f16 v9, v9, v13, v10
	v_lshrrev_b32_e32 v10, 16, v64
	v_mul_f16_sdwa v84, v10, v15 dst_sel:DWORD dst_unused:UNUSED_PAD src0_sel:DWORD src1_sel:WORD_1
	v_fma_f16 v84, v64, v15, -v84
	v_mul_f16_sdwa v64, v64, v15 dst_sel:DWORD dst_unused:UNUSED_PAD src0_sel:DWORD src1_sel:WORD_1
	v_fma_f16 v10, v10, v15, v64
	v_lshrrev_b32_e32 v64, 16, v8
	v_mul_f16_sdwa v85, v64, v212 dst_sel:DWORD dst_unused:UNUSED_PAD src0_sel:DWORD src1_sel:WORD_1
	v_pack_b32_f16 v118, v118, v119
	v_fma_f16 v85, v8, v212, -v85
	v_mul_f16_sdwa v8, v8, v212 dst_sel:DWORD dst_unused:UNUSED_PAD src0_sel:DWORD src1_sel:WORD_1
	ds_write2_b32 v134, v116, v118 offset0:98 offset1:147
	v_fma_f16 v8, v64, v212, v8
	v_add_f16_e32 v64, v120, v117
	v_lshrrev_b32_e32 v86, 16, v197
	v_mul_f16_sdwa v113, v197, v12 dst_sel:DWORD dst_unused:UNUSED_PAD src0_sel:DWORD src1_sel:WORD_1
	v_lshrrev_b32_e32 v116, 16, v220
	v_mul_f16_sdwa v117, v220, v211 dst_sel:DWORD dst_unused:UNUSED_PAD src0_sel:DWORD src1_sel:WORD_1
	v_fma_f16 v113, v86, v12, v113
	v_mul_f16_sdwa v86, v86, v12 dst_sel:DWORD dst_unused:UNUSED_PAD src0_sel:DWORD src1_sel:WORD_1
	v_lshrrev_b32_e32 v114, 16, v218
	v_mul_f16_sdwa v115, v218, v14 dst_sel:DWORD dst_unused:UNUSED_PAD src0_sel:DWORD src1_sel:WORD_1
	v_fma_f16 v117, v116, v211, v117
	v_mul_f16_sdwa v116, v116, v211 dst_sel:DWORD dst_unused:UNUSED_PAD src0_sel:DWORD src1_sel:WORD_1
	v_fma_f16 v86, v197, v12, -v86
	v_fma_f16 v115, v114, v14, v115
	v_mul_f16_sdwa v114, v114, v14 dst_sel:DWORD dst_unused:UNUSED_PAD src0_sel:DWORD src1_sel:WORD_1
	v_fma_f16 v116, v220, v211, -v116
	v_fma_f16 v114, v218, v14, -v114
	v_add_f16_e32 v118, v86, v85
	v_add_f16_e32 v119, v81, v116
	;; [unrolled: 1-line block ×4, first 2 shown]
	v_sub_f16_e32 v62, v62, v121
	v_add_f16_e32 v120, v114, v84
	v_add_f16_e32 v121, v119, v118
	;; [unrolled: 1-line block ×7, first 2 shown]
	v_add_f16_sdwa v63, v125, v63 dst_sel:DWORD dst_unused:UNUSED_PAD src0_sel:DWORD src1_sel:WORD_1
	v_pack_b32_f16 v62, v62, v64
	v_lshlrev_b32_e32 v64, 16, v63
	v_or_b32_e32 v64, v64, v126
	ds_write2_b32 v194, v62, v64 offset0:38 offset1:87
	v_sub_f16_e32 v64, v81, v116
	v_sub_f16_e32 v81, v84, v114
	;; [unrolled: 1-line block ×6, first 2 shown]
	v_add_f16_e32 v116, v81, v64
	v_sub_f16_e32 v8, v113, v8
	v_sub_f16_e32 v86, v120, v119
	;; [unrolled: 1-line block ×5, first 2 shown]
	v_add_f16_e32 v62, v116, v62
	v_add_f16_e32 v116, v10, v9
	v_mul_f16_e32 v85, 0x3a52, v85
	v_sub_f16_e32 v84, v119, v118
	v_sub_f16_e32 v114, v122, v124
	;; [unrolled: 1-line block ×6, first 2 shown]
	v_add_f16_e32 v8, v116, v8
	v_fma_f16 v116, v121, s6, v126
	v_fma_f16 v121, v86, s12, v85
	v_mul_f16_e32 v86, 0x2b26, v86
	v_sub_f16_e32 v113, v123, v122
	v_mul_f16_e32 v114, 0x3a52, v114
	v_mul_f16_e32 v117, 0xb846, v117
	;; [unrolled: 1-line block ×5, first 2 shown]
	v_fma_f16 v85, v84, s1, -v85
	v_fma_f16 v84, v84, s13, -v86
	v_mul_f16_e32 v86, 0x2b26, v115
	v_fma_f16 v63, v125, s6, v63
	v_fma_f16 v119, v81, s0, v119
	;; [unrolled: 1-line block ×6, first 2 shown]
	v_fma_f16 v114, v113, s1, -v114
	v_fma_f16 v86, v113, s13, -v86
	;; [unrolled: 1-line block ×4, first 2 shown]
	v_add_f16_e32 v122, v122, v63
	v_fma_f16 v81, v62, s14, v81
	v_fma_f16 v10, v8, s14, v10
	v_add_f16_e32 v114, v114, v63
	v_fma_f16 v119, v62, s14, v119
	v_fma_f16 v120, v8, s14, v120
	v_add_f16_e32 v84, v84, v116
	v_add_f16_e32 v63, v86, v63
	v_fma_f16 v62, v62, s14, v64
	v_fma_f16 v8, v8, s14, v9
	v_sub_f16_e32 v9, v84, v8
	v_add_f16_e32 v8, v8, v84
	v_add_f16_e32 v64, v62, v63
	v_sub_f16_e32 v62, v63, v62
	v_add_f16_e32 v121, v121, v116
	v_add_f16_e32 v85, v85, v116
	v_pack_b32_f16 v9, v9, v64
	v_pack_b32_f16 v8, v8, v62
	v_add_f16_e32 v123, v10, v121
	ds_write2_b32 v137, v9, v8 offset0:106 offset1:155
	v_sub_f16_e32 v8, v85, v120
	v_add_f16_e32 v9, v119, v114
	v_sub_f16_e32 v10, v121, v10
	v_add_f16_e32 v62, v81, v122
	v_pack_b32_f16 v8, v8, v9
	v_pack_b32_f16 v9, v10, v62
	ds_write2_b32 v185, v8, v9 offset0:76 offset1:125
	v_lshrrev_b32_e32 v8, 16, v198
	s_waitcnt vmcnt(8)
	v_mul_f16_sdwa v10, v198, v56 dst_sel:DWORD dst_unused:UNUSED_PAD src0_sel:DWORD src1_sel:WORD_1
	v_mul_f16_sdwa v9, v8, v56 dst_sel:DWORD dst_unused:UNUSED_PAD src0_sel:DWORD src1_sel:WORD_1
	v_fma_f16 v8, v8, v56, v10
	v_lshrrev_b32_e32 v10, 16, v219
	v_mul_f16_sdwa v63, v219, v58 dst_sel:DWORD dst_unused:UNUSED_PAD src0_sel:DWORD src1_sel:WORD_1
	v_sub_f16_e32 v124, v122, v81
	v_mul_f16_sdwa v62, v10, v58 dst_sel:DWORD dst_unused:UNUSED_PAD src0_sel:DWORD src1_sel:WORD_1
	v_fma_f16 v10, v10, v58, v63
	v_lshrrev_b32_e32 v63, 16, v221
	v_mul_f16_sdwa v81, v221, v111 dst_sel:DWORD dst_unused:UNUSED_PAD src0_sel:DWORD src1_sel:WORD_1
	v_mul_f16_sdwa v64, v63, v111 dst_sel:DWORD dst_unused:UNUSED_PAD src0_sel:DWORD src1_sel:WORD_1
	v_fma_f16 v63, v63, v111, v81
	v_lshrrev_b32_e32 v81, 16, v230
	v_mul_f16_sdwa v84, v230, v112 dst_sel:DWORD dst_unused:UNUSED_PAD src0_sel:DWORD src1_sel:WORD_1
	v_fma_f16 v84, v81, v112, v84
	v_mul_f16_sdwa v81, v81, v112 dst_sel:DWORD dst_unused:UNUSED_PAD src0_sel:DWORD src1_sel:WORD_1
	v_fma_f16 v9, v198, v56, -v9
	v_fma_f16 v81, v230, v112, -v81
	v_pack_b32_f16 v123, v123, v124
	v_add_f16_e32 v124, v120, v85
	v_add_f16_e32 v85, v9, v81
	v_sub_f16_e32 v81, v9, v81
	v_add_f16_e32 v86, v8, v84
	v_sub_f16_e32 v84, v8, v84
	v_lshrrev_b32_e32 v8, 16, v224
	v_mul_f16_sdwa v9, v224, v57 dst_sel:DWORD dst_unused:UNUSED_PAD src0_sel:DWORD src1_sel:WORD_1
	v_fma_f16 v9, v8, v57, v9
	v_mul_f16_sdwa v8, v8, v57 dst_sel:DWORD dst_unused:UNUSED_PAD src0_sel:DWORD src1_sel:WORD_1
	v_fma_f16 v64, v221, v111, -v64
	v_fma_f16 v8, v224, v57, -v8
	v_sub_f16_e32 v125, v114, v119
	v_add_f16_e32 v113, v8, v64
	v_sub_f16_e32 v64, v8, v64
	v_add_f16_e32 v114, v9, v63
	v_sub_f16_e32 v63, v9, v63
	v_lshrrev_b32_e32 v8, 16, v228
	v_mul_f16_sdwa v9, v228, v59 dst_sel:DWORD dst_unused:UNUSED_PAD src0_sel:DWORD src1_sel:WORD_1
	v_fma_f16 v9, v8, v59, v9
	v_mul_f16_sdwa v8, v8, v59 dst_sel:DWORD dst_unused:UNUSED_PAD src0_sel:DWORD src1_sel:WORD_1
	v_fma_f16 v62, v219, v58, -v62
	v_fma_f16 v8, v228, v59, -v8
	v_add_f16_e32 v115, v62, v8
	v_sub_f16_e32 v8, v8, v62
	v_add_f16_e32 v62, v10, v9
	v_add_f16_e32 v116, v114, v86
	v_sub_f16_e32 v9, v9, v10
	v_add_f16_e32 v10, v113, v85
	v_add_f16_e32 v116, v62, v116
	v_pack_b32_f16 v124, v124, v125
	v_add_f16_e32 v10, v115, v10
	v_add_f16_sdwa v118, v116, v222 dst_sel:DWORD dst_unused:UNUSED_PAD src0_sel:DWORD src1_sel:WORD_1
	ds_write2_b32 v194, v123, v124 offset0:136 offset1:185
	v_add_f16_e32 v117, v10, v222
	v_lshlrev_b32_e32 v119, 16, v118
	v_sub_f16_e32 v121, v8, v64
	v_sub_f16_e32 v123, v9, v63
	v_or_b32_e32 v119, v119, v117
	v_fma_f16 v117, v10, s6, v117
	v_fma_f16 v116, v116, s6, v118
	v_sub_f16_e32 v10, v85, v115
	v_sub_f16_e32 v115, v115, v113
	;; [unrolled: 1-line block ×4, first 2 shown]
	v_add_f16_e32 v62, v8, v64
	v_sub_f16_e32 v122, v81, v8
	v_add_f16_e32 v8, v9, v63
	v_mul_f16_e32 v121, 0xb846, v121
	v_mul_f16_e32 v123, 0xb846, v123
	v_sub_f16_e32 v64, v64, v81
	v_sub_f16_e32 v63, v63, v84
	;; [unrolled: 1-line block ×3, first 2 shown]
	v_add_f16_e32 v125, v62, v81
	v_add_f16_e32 v126, v8, v84
	v_mul_f16_e32 v127, 0x3a52, v10
	v_mul_f16_e32 v118, 0x3a52, v118
	v_sub_f16_e32 v82, v113, v85
	v_sub_f16_e32 v85, v114, v86
	v_mul_f16_e32 v81, 0x2b26, v115
	v_mul_f16_e32 v84, 0x2b26, v120
	v_fma_f16 v86, v64, s15, -v121
	v_mul_f16_e32 v64, 0xbb00, v64
	v_fma_f16 v113, v63, s15, -v123
	v_mul_f16_e32 v63, 0xbb00, v63
	v_fma_f16 v8, v115, s12, v127
	v_fma_f16 v9, v120, s12, v118
	;; [unrolled: 1-line block ×4, first 2 shown]
	v_fma_f16 v81, v82, s13, -v81
	v_fma_f16 v82, v82, s1, -v127
	;; [unrolled: 1-line block ×4, first 2 shown]
	v_fma_f16 v64, v122, s0, v64
	v_fma_f16 v63, v124, s0, v63
	v_add_f16_e32 v8, v8, v117
	v_add_f16_e32 v9, v9, v116
	v_fma_f16 v10, v125, s14, v10
	v_fma_f16 v62, v126, s14, v62
	v_add_f16_e32 v82, v82, v117
	v_add_f16_e32 v85, v85, v116
	v_fma_f16 v64, v125, s14, v64
	v_fma_f16 v63, v126, s14, v63
	v_add_f16_e32 v128, v62, v8
	v_sub_f16_e32 v129, v9, v10
	v_add_f16_e32 v81, v81, v117
	v_add_f16_e32 v84, v84, v116
	v_fma_f16 v86, v125, s14, v86
	v_fma_f16 v113, v126, s14, v113
	v_add_f16_e32 v114, v63, v82
	v_sub_f16_e32 v115, v85, v64
	v_pack_b32_f16 v128, v128, v129
	v_pack_b32_f16 v114, v114, v115
	v_sub_f16_e32 v115, v81, v113
	v_add_f16_e32 v116, v86, v84
	v_add_f16_e32 v81, v113, v81
	v_sub_f16_e32 v84, v84, v86
	v_sub_f16_e32 v63, v82, v63
	v_add_f16_e32 v64, v64, v85
	buffer_store_dword v1, off, s[20:23], 0 offset:188 ; 4-byte Folded Spill
	ds_write2_b32 v1, v119, v128 offset0:174 offset1:223
	v_add_u32_e32 v1, 0xc00, v0
	v_pack_b32_f16 v81, v81, v84
	v_pack_b32_f16 v63, v63, v64
	buffer_store_dword v1, off, s[20:23], 0 offset:192 ; 4-byte Folded Spill
	buffer_store_dword v0, off, s[20:23], 0 offset:232 ; 4-byte Folded Spill
	ds_write2_b32 v1, v81, v63 offset0:114 offset1:163
	v_lshrrev_b32_e32 v63, 16, v225
	s_waitcnt vmcnt(9)
	v_mul_f16_sdwa v81, v225, v53 dst_sel:DWORD dst_unused:UNUSED_PAD src0_sel:DWORD src1_sel:WORD_1
	v_mul_f16_sdwa v64, v63, v53 dst_sel:DWORD dst_unused:UNUSED_PAD src0_sel:DWORD src1_sel:WORD_1
	v_fma_f16 v63, v63, v53, v81
	v_lshrrev_b32_e32 v81, 16, v229
	v_mul_f16_sdwa v84, v229, v55 dst_sel:DWORD dst_unused:UNUSED_PAD src0_sel:DWORD src1_sel:WORD_1
	v_mul_f16_sdwa v82, v81, v55 dst_sel:DWORD dst_unused:UNUSED_PAD src0_sel:DWORD src1_sel:WORD_1
	v_fma_f16 v81, v81, v55, v84
	v_lshrrev_b32_e32 v84, 16, v231
	;; [unrolled: 4-line block ×3, first 2 shown]
	v_mul_f16_sdwa v113, v232, v52 dst_sel:DWORD dst_unused:UNUSED_PAD src0_sel:DWORD src1_sel:WORD_1
	v_fma_f16 v113, v86, v52, v113
	v_mul_f16_sdwa v86, v86, v52 dst_sel:DWORD dst_unused:UNUSED_PAD src0_sel:DWORD src1_sel:WORD_1
	v_pack_b32_f16 v115, v115, v116
	v_fma_f16 v85, v231, v165, -v85
	v_fma_f16 v86, v232, v52, -v86
	ds_write2_b32 v1, v114, v115 offset0:16 offset1:65
	v_add_f16_e32 v114, v86, v85
	v_sub_f16_e32 v85, v86, v85
	v_add_f16_e32 v86, v113, v84
	v_sub_f16_e32 v84, v113, v84
	v_lshrrev_b32_e32 v113, 16, v236
	v_mul_f16_sdwa v115, v236, v164 dst_sel:DWORD dst_unused:UNUSED_PAD src0_sel:DWORD src1_sel:WORD_1
	v_fma_f16 v115, v113, v164, v115
	v_mul_f16_sdwa v113, v113, v164 dst_sel:DWORD dst_unused:UNUSED_PAD src0_sel:DWORD src1_sel:WORD_1
	v_fma_f16 v64, v225, v53, -v64
	v_fma_f16 v113, v236, v164, -v113
	v_add_f16_e32 v116, v64, v113
	v_sub_f16_e32 v64, v64, v113
	v_add_f16_e32 v113, v63, v115
	v_sub_f16_e32 v63, v63, v115
	v_lshrrev_b32_e32 v115, 16, v234
	v_mul_f16_sdwa v117, v234, v54 dst_sel:DWORD dst_unused:UNUSED_PAD src0_sel:DWORD src1_sel:WORD_1
	v_fma_f16 v117, v115, v54, v117
	v_mul_f16_sdwa v115, v115, v54 dst_sel:DWORD dst_unused:UNUSED_PAD src0_sel:DWORD src1_sel:WORD_1
	v_fma_f16 v82, v229, v55, -v82
	v_fma_f16 v115, v234, v54, -v115
	v_add_f16_e32 v118, v115, v82
	v_sub_f16_e32 v82, v82, v115
	v_add_f16_e32 v115, v117, v81
	v_add_f16_e32 v119, v113, v86
	v_sub_f16_e32 v81, v81, v117
	v_add_f16_e32 v117, v116, v114
	v_add_f16_e32 v119, v115, v119
	;; [unrolled: 1-line block ×3, first 2 shown]
	v_add_f16_sdwa v121, v119, v223 dst_sel:DWORD dst_unused:UNUSED_PAD src0_sel:DWORD src1_sel:WORD_1
	v_add_f16_e32 v120, v117, v223
	v_lshlrev_b32_e32 v122, 16, v121
	v_or_b32_e32 v122, v122, v120
	v_fma_f16 v117, v117, s6, v120
	v_sub_f16_e32 v120, v114, v118
	v_sub_f16_e32 v118, v118, v116
	v_sub_f16_e32 v124, v82, v64
	v_add_f16_e32 v125, v81, v63
	v_add_f16_e32 v123, v82, v64
	v_sub_f16_e32 v126, v81, v63
	v_sub_f16_e32 v81, v84, v81
	v_add_f16_e32 v125, v125, v84
	v_mul_f16_e32 v120, 0x3a52, v120
	v_mul_f16_e32 v124, 0xb846, v124
	v_sub_f16_e32 v114, v116, v114
	v_sub_f16_e32 v64, v64, v85
	;; [unrolled: 1-line block ×3, first 2 shown]
	v_mul_f16_e32 v84, 0x2b26, v118
	v_fma_f16 v119, v119, s6, v121
	v_sub_f16_e32 v121, v86, v115
	v_sub_f16_e32 v115, v115, v113
	;; [unrolled: 1-line block ×3, first 2 shown]
	v_add_f16_e32 v123, v123, v85
	v_mul_f16_e32 v126, 0xb846, v126
	v_fma_f16 v84, v114, s13, -v84
	v_fma_f16 v85, v114, s1, -v120
	;; [unrolled: 1-line block ×3, first 2 shown]
	v_mul_f16_e32 v64, 0xbb00, v64
	v_mul_f16_e32 v121, 0x3a52, v121
	v_fma_f16 v129, v82, s7, v124
	v_sub_f16_e32 v86, v113, v86
	v_mul_f16_e32 v113, 0x2b26, v115
	v_fma_f16 v64, v82, s0, v64
	v_fma_f16 v82, v63, s15, -v126
	v_mul_f16_e32 v63, 0xbb00, v63
	v_fma_f16 v113, v86, s13, -v113
	v_fma_f16 v86, v86, s1, -v121
	v_fma_f16 v63, v81, s0, v63
	v_fma_f16 v130, v81, s7, v126
	v_add_f16_e32 v81, v84, v117
	v_add_f16_e32 v84, v85, v117
	;; [unrolled: 1-line block ×3, first 2 shown]
	v_fma_f16 v64, v123, s14, v64
	v_fma_f16 v63, v125, s14, v63
	;; [unrolled: 1-line block ×3, first 2 shown]
	v_add_f16_e32 v85, v113, v119
	v_fma_f16 v113, v123, s14, v114
	v_fma_f16 v82, v125, s14, v82
	v_add_f16_e32 v114, v63, v84
	v_sub_f16_e32 v115, v86, v64
	v_lshlrev_b32_e32 v1, 2, v133
	v_pack_b32_f16 v114, v114, v115
	v_sub_f16_e32 v115, v81, v82
	v_add_f16_e32 v81, v82, v81
	v_sub_f16_e32 v82, v85, v113
	v_sub_f16_e32 v63, v84, v63
	v_add_f16_e32 v64, v64, v86
	v_add_u32_e32 v3, 0x1000, v1
	v_pack_b32_f16 v81, v81, v82
	v_pack_b32_f16 v63, v63, v64
	ds_write2_b32 v3, v81, v63 offset0:201 offset1:250
	v_lshrrev_b32_e32 v63, 16, v233
	s_waitcnt vmcnt(7)
	v_mul_f16_sdwa v81, v233, v48 dst_sel:DWORD dst_unused:UNUSED_PAD src0_sel:DWORD src1_sel:WORD_1
	v_mul_f16_sdwa v64, v63, v48 dst_sel:DWORD dst_unused:UNUSED_PAD src0_sel:DWORD src1_sel:WORD_1
	v_fma_f16 v63, v63, v48, v81
	v_lshrrev_b32_e32 v81, 16, v235
	v_mul_f16_sdwa v84, v235, v50 dst_sel:DWORD dst_unused:UNUSED_PAD src0_sel:DWORD src1_sel:WORD_1
	v_mul_f16_sdwa v82, v81, v50 dst_sel:DWORD dst_unused:UNUSED_PAD src0_sel:DWORD src1_sel:WORD_1
	v_fma_f16 v81, v81, v50, v84
	v_lshrrev_b32_e32 v84, 16, v237
	v_mul_f16_sdwa v86, v237, v168 dst_sel:DWORD dst_unused:UNUSED_PAD src0_sel:DWORD src1_sel:WORD_1
	v_add_f16_e32 v116, v113, v85
	v_mul_f16_sdwa v85, v84, v168 dst_sel:DWORD dst_unused:UNUSED_PAD src0_sel:DWORD src1_sel:WORD_1
	v_fma_f16 v84, v84, v168, v86
	v_lshrrev_b32_e32 v86, 16, v73
	v_mul_f16_sdwa v113, v73, v169 dst_sel:DWORD dst_unused:UNUSED_PAD src0_sel:DWORD src1_sel:WORD_1
	v_fma_f16 v113, v86, v169, v113
	v_mul_f16_sdwa v86, v86, v169 dst_sel:DWORD dst_unused:UNUSED_PAD src0_sel:DWORD src1_sel:WORD_1
	v_pack_b32_f16 v115, v115, v116
	v_fma_f16 v64, v233, v48, -v64
	v_fma_f16 v73, v73, v169, -v86
	ds_write2_b32 v3, v114, v115 offset0:103 offset1:152
	v_add_f16_e32 v86, v64, v73
	v_sub_f16_e32 v64, v64, v73
	v_add_f16_e32 v73, v63, v113
	v_sub_f16_e32 v63, v63, v113
	v_lshrrev_b32_e32 v113, 16, v77
	v_mul_f16_sdwa v114, v77, v49 dst_sel:DWORD dst_unused:UNUSED_PAD src0_sel:DWORD src1_sel:WORD_1
	v_fma_f16 v114, v113, v49, v114
	v_mul_f16_sdwa v113, v113, v49 dst_sel:DWORD dst_unused:UNUSED_PAD src0_sel:DWORD src1_sel:WORD_1
	v_fma_f16 v85, v237, v168, -v85
	v_fma_f16 v77, v77, v49, -v113
	v_add_f16_e32 v113, v77, v85
	v_sub_f16_e32 v77, v77, v85
	v_add_f16_e32 v85, v114, v84
	v_sub_f16_e32 v84, v114, v84
	v_lshrrev_b32_e32 v114, 16, v75
	v_mul_f16_sdwa v115, v75, v51 dst_sel:DWORD dst_unused:UNUSED_PAD src0_sel:DWORD src1_sel:WORD_1
	v_fma_f16 v115, v114, v51, v115
	v_mul_f16_sdwa v114, v114, v51 dst_sel:DWORD dst_unused:UNUSED_PAD src0_sel:DWORD src1_sel:WORD_1
	v_fma_f16 v82, v235, v50, -v82
	v_fma_f16 v75, v75, v51, -v114
	v_fma_f16 v127, v118, s12, v120
	v_add_f16_e32 v114, v82, v75
	v_sub_f16_e32 v75, v75, v82
	v_add_f16_e32 v82, v81, v115
	v_sub_f16_e32 v81, v115, v81
	v_add_f16_e32 v115, v113, v86
	v_add_f16_e32 v116, v85, v73
	;; [unrolled: 1-line block ×4, first 2 shown]
	v_fma_f16 v129, v123, s14, v129
	v_fma_f16 v130, v125, s14, v130
	v_add_f16_e32 v115, v114, v115
	v_add_f16_e32 v116, v82, v116
	;; [unrolled: 1-line block ×3, first 2 shown]
	v_sub_f16_e32 v132, v128, v129
	v_add_f16_e32 v117, v115, v71
	v_add_f16_sdwa v71, v116, v71 dst_sel:DWORD dst_unused:UNUSED_PAD src0_sel:DWORD src1_sel:WORD_1
	v_pack_b32_f16 v131, v131, v132
	v_lshlrev_b32_e32 v118, 16, v71
	v_add_f16_e32 v119, v75, v77
	v_sub_f16_e32 v120, v75, v77
	ds_write2_b32 v3, v122, v131 offset0:5 offset1:54
	v_or_b32_e32 v118, v118, v117
	v_fma_f16 v115, v115, s6, v117
	v_sub_f16_e32 v117, v73, v82
	v_sub_f16_e32 v75, v64, v75
	v_add_f16_e32 v121, v81, v84
	v_sub_f16_e32 v122, v81, v84
	v_add_f16_e32 v119, v119, v64
	v_mul_f16_e32 v120, 0xb846, v120
	v_sub_f16_e32 v64, v77, v64
	v_fma_f16 v71, v116, s6, v71
	v_sub_f16_e32 v116, v86, v114
	v_sub_f16_e32 v114, v114, v113
	;; [unrolled: 1-line block ×4, first 2 shown]
	v_add_f16_e32 v121, v121, v63
	v_mul_f16_e32 v117, 0x3a52, v117
	v_mul_f16_e32 v122, 0xb846, v122
	v_sub_f16_e32 v63, v84, v63
	v_fma_f16 v84, v64, s15, -v120
	v_mul_f16_e32 v64, 0xbb00, v64
	buffer_store_dword v3, off, s[20:23], 0 offset:200 ; 4-byte Folded Spill
	v_mul_f16_e32 v116, 0x3a52, v116
	v_fma_f16 v124, v82, s12, v117
	v_fma_f16 v125, v75, s7, v120
	v_lshlrev_b32_e32 v3, 2, v80
	v_sub_f16_e32 v80, v113, v86
	v_sub_f16_e32 v73, v85, v73
	v_mul_f16_e32 v77, 0x2b26, v114
	v_mul_f16_e32 v82, 0x2b26, v82
	v_fma_f16 v64, v75, s0, v64
	v_fma_f16 v75, v63, s15, -v122
	v_mul_f16_e32 v63, 0xbb00, v63
	v_fma_f16 v77, v80, s13, -v77
	v_fma_f16 v80, v80, s1, -v116
	v_fma_f16 v82, v73, s13, -v82
	v_fma_f16 v73, v73, s1, -v117
	v_fma_f16 v63, v81, s0, v63
	v_fma_f16 v123, v114, s12, v116
	v_add_f16_e32 v124, v124, v71
	v_fma_f16 v126, v81, s7, v122
	v_add_f16_e32 v80, v80, v115
	v_add_f16_e32 v81, v82, v71
	;; [unrolled: 1-line block ×3, first 2 shown]
	v_fma_f16 v64, v119, s14, v64
	v_fma_f16 v63, v121, s14, v63
	v_add_f16_e32 v123, v123, v115
	v_fma_f16 v125, v119, s14, v125
	v_fma_f16 v126, v121, s14, v126
	v_add_f16_e32 v77, v77, v115
	;; [unrolled: 3-line block ×3, first 2 shown]
	v_sub_f16_e32 v84, v71, v64
	v_add_f16_e32 v131, v126, v123
	v_sub_f16_e32 v132, v124, v125
	v_pack_b32_f16 v82, v82, v84
	v_sub_f16_e32 v84, v77, v75
	v_add_f16_e32 v85, v73, v81
	v_pack_b32_f16 v131, v131, v132
	v_add_u32_e32 v16, 0x1400, v3
	v_pack_b32_f16 v84, v84, v85
	v_add_f16_e32 v75, v75, v77
	v_sub_f16_e32 v73, v81, v73
	v_sub_f16_e32 v63, v80, v63
	v_add_f16_e32 v64, v64, v71
	ds_write2_b32 v16, v118, v131 offset0:92 offset1:141
	buffer_store_dword v16, off, s[20:23], 0 offset:208 ; 4-byte Folded Spill
	ds_write2_b32 v16, v82, v84 offset0:190 offset1:239
	v_pack_b32_f16 v71, v75, v73
	v_pack_b32_f16 v63, v63, v64
	v_add_u32_e32 v16, 0x1800, v3
	buffer_store_dword v1, off, s[20:23], 0 offset:228 ; 4-byte Folded Spill
	buffer_store_dword v16, off, s[20:23], 0 offset:196 ; 4-byte Folded Spill
	;; [unrolled: 1-line block ×3, first 2 shown]
	ds_write2_b32 v16, v71, v63 offset0:32 offset1:81
	v_lshrrev_b32_e32 v63, 16, v78
	s_waitcnt vmcnt(10)
	v_mul_f16_sdwa v71, v78, v45 dst_sel:DWORD dst_unused:UNUSED_PAD src0_sel:DWORD src1_sel:WORD_1
	v_mul_f16_sdwa v64, v63, v45 dst_sel:DWORD dst_unused:UNUSED_PAD src0_sel:DWORD src1_sel:WORD_1
	v_fma_f16 v63, v63, v45, v71
	v_lshrrev_b32_e32 v71, 16, v76
	v_mul_f16_sdwa v75, v76, v47 dst_sel:DWORD dst_unused:UNUSED_PAD src0_sel:DWORD src1_sel:WORD_1
	v_mul_f16_sdwa v73, v71, v47 dst_sel:DWORD dst_unused:UNUSED_PAD src0_sel:DWORD src1_sel:WORD_1
	v_fma_f16 v71, v71, v47, v75
	v_lshrrev_b32_e32 v75, 16, v74
	v_fma_f16 v73, v76, v47, -v73
	v_mul_f16_sdwa v76, v75, v173 dst_sel:DWORD dst_unused:UNUSED_PAD src0_sel:DWORD src1_sel:WORD_1
	v_fma_f16 v76, v74, v173, -v76
	v_mul_f16_sdwa v74, v74, v173 dst_sel:DWORD dst_unused:UNUSED_PAD src0_sel:DWORD src1_sel:WORD_1
	v_fma_f16 v74, v75, v173, v74
	v_lshrrev_b32_e32 v75, 16, v69
	v_mul_f16_sdwa v77, v69, v44 dst_sel:DWORD dst_unused:UNUSED_PAD src0_sel:DWORD src1_sel:WORD_1
	v_fma_f16 v77, v75, v44, v77
	v_mul_f16_sdwa v75, v75, v44 dst_sel:DWORD dst_unused:UNUSED_PAD src0_sel:DWORD src1_sel:WORD_1
	v_fma_f16 v69, v69, v44, -v75
	v_fma_f16 v64, v78, v45, -v64
	v_add_f16_e32 v75, v69, v76
	v_sub_f16_e32 v69, v69, v76
	v_add_f16_e32 v76, v77, v74
	v_sub_f16_e32 v74, v77, v74
	v_lshrrev_b32_e32 v77, 16, v65
	v_mul_f16_sdwa v78, v65, v172 dst_sel:DWORD dst_unused:UNUSED_PAD src0_sel:DWORD src1_sel:WORD_1
	v_fma_f16 v78, v77, v172, v78
	v_mul_f16_sdwa v77, v77, v172 dst_sel:DWORD dst_unused:UNUSED_PAD src0_sel:DWORD src1_sel:WORD_1
	v_fma_f16 v65, v65, v172, -v77
	v_add_f16_e32 v77, v64, v65
	v_sub_f16_e32 v64, v64, v65
	v_add_f16_e32 v65, v63, v78
	v_sub_f16_e32 v63, v63, v78
	v_lshrrev_b32_e32 v78, 16, v67
	v_mul_f16_sdwa v80, v67, v46 dst_sel:DWORD dst_unused:UNUSED_PAD src0_sel:DWORD src1_sel:WORD_1
	v_fma_f16 v80, v78, v46, v80
	v_mul_f16_sdwa v78, v78, v46 dst_sel:DWORD dst_unused:UNUSED_PAD src0_sel:DWORD src1_sel:WORD_1
	v_fma_f16 v67, v67, v46, -v78
	v_add_f16_e32 v78, v67, v73
	v_sub_f16_e32 v67, v73, v67
	v_add_f16_e32 v73, v80, v71
	v_sub_f16_e32 v71, v71, v80
	v_add_f16_e32 v80, v77, v75
	v_add_f16_e32 v81, v65, v76
	;; [unrolled: 1-line block ×5, first 2 shown]
	v_add_f16_sdwa v72, v81, v72 dst_sel:DWORD dst_unused:UNUSED_PAD src0_sel:DWORD src1_sel:WORD_1
	v_lshlrev_b32_e32 v84, 16, v72
	v_fma_f16 v72, v81, s6, v72
	v_sub_f16_e32 v81, v75, v78
	v_sub_f16_e32 v78, v78, v77
	v_add_f16_e32 v85, v67, v64
	v_sub_f16_e32 v86, v67, v64
	v_or_b32_e32 v84, v84, v82
	v_fma_f16 v80, v80, s6, v82
	v_sub_f16_e32 v82, v76, v73
	v_sub_f16_e32 v67, v69, v67
	v_add_f16_e32 v113, v71, v63
	v_sub_f16_e32 v114, v71, v63
	v_add_f16_e32 v85, v85, v69
	v_mul_f16_e32 v81, 0x3a52, v81
	v_mul_f16_e32 v86, 0xb846, v86
	v_sub_f16_e32 v75, v77, v75
	v_sub_f16_e32 v64, v64, v69
	v_mul_f16_e32 v69, 0x2b26, v78
	v_sub_f16_e32 v73, v73, v65
	v_sub_f16_e32 v71, v74, v71
	v_add_f16_e32 v113, v113, v74
	v_mul_f16_e32 v82, 0x3a52, v82
	v_mul_f16_e32 v114, 0xb846, v114
	v_sub_f16_e32 v63, v63, v74
	v_fma_f16 v69, v75, s13, -v69
	v_fma_f16 v74, v75, s1, -v81
	;; [unrolled: 1-line block ×3, first 2 shown]
	v_mul_f16_e32 v64, 0xbb00, v64
	v_fma_f16 v116, v73, s12, v82
	v_fma_f16 v117, v67, s7, v86
	v_sub_f16_e32 v65, v65, v76
	v_mul_f16_e32 v73, 0x2b26, v73
	v_fma_f16 v64, v67, s0, v64
	v_fma_f16 v67, v63, s15, -v114
	v_mul_f16_e32 v63, 0xbb00, v63
	v_fma_f16 v73, v65, s13, -v73
	v_fma_f16 v65, v65, s1, -v82
	v_fma_f16 v63, v71, s0, v63
	v_fma_f16 v118, v71, s7, v114
	v_add_f16_e32 v71, v74, v80
	v_add_f16_e32 v65, v65, v72
	v_fma_f16 v64, v85, s14, v64
	v_fma_f16 v63, v113, s14, v63
	v_add_f16_e32 v116, v116, v72
	v_add_f16_e32 v69, v69, v80
	;; [unrolled: 1-line block ×3, first 2 shown]
	v_fma_f16 v72, v85, s14, v75
	v_fma_f16 v67, v113, s14, v67
	v_add_f16_e32 v74, v63, v71
	v_sub_f16_e32 v75, v65, v64
	v_lshlrev_b32_e32 v16, 2, v83
	v_pack_b32_f16 v74, v74, v75
	v_sub_f16_e32 v75, v69, v67
	v_add_f16_e32 v67, v67, v69
	v_sub_f16_e32 v69, v73, v72
	v_sub_f16_e32 v63, v71, v63
	v_add_f16_e32 v64, v64, v65
	v_add_u32_e32 v18, 0x1c00, v16
	v_pack_b32_f16 v65, v67, v69
	v_pack_b32_f16 v63, v63, v64
	ds_write2_b32 v18, v65, v63 offset0:119 offset1:168
	v_lshrrev_b32_e32 v63, 16, v70
	s_waitcnt vmcnt(8)
	v_mul_f16_sdwa v65, v70, v99 dst_sel:DWORD dst_unused:UNUSED_PAD src0_sel:DWORD src1_sel:WORD_1
	v_mul_f16_sdwa v64, v63, v99 dst_sel:DWORD dst_unused:UNUSED_PAD src0_sel:DWORD src1_sel:WORD_1
	v_fma_f16 v63, v63, v99, v65
	v_lshrrev_b32_e32 v65, 16, v6
	v_mul_f16_sdwa v67, v65, v100 dst_sel:DWORD dst_unused:UNUSED_PAD src0_sel:DWORD src1_sel:WORD_1
	v_fma_f16 v67, v6, v100, -v67
	v_mul_f16_sdwa v6, v6, v100 dst_sel:DWORD dst_unused:UNUSED_PAD src0_sel:DWORD src1_sel:WORD_1
	v_fma_f16 v6, v65, v100, v6
	v_lshrrev_b32_e32 v65, 16, v68
	v_mul_f16_sdwa v69, v65, v101 dst_sel:DWORD dst_unused:UNUSED_PAD src0_sel:DWORD src1_sel:WORD_1
	v_fma_f16 v69, v68, v101, -v69
	v_mul_f16_sdwa v68, v68, v101 dst_sel:DWORD dst_unused:UNUSED_PAD src0_sel:DWORD src1_sel:WORD_1
	v_fma_f16 v65, v65, v101, v68
	v_lshrrev_b32_e32 v68, 16, v5
	v_fma_f16 v64, v70, v99, -v64
	v_mul_f16_sdwa v70, v68, v102 dst_sel:DWORD dst_unused:UNUSED_PAD src0_sel:DWORD src1_sel:WORD_1
	v_fma_f16 v70, v5, v102, -v70
	v_mul_f16_sdwa v5, v5, v102 dst_sel:DWORD dst_unused:UNUSED_PAD src0_sel:DWORD src1_sel:WORD_1
	v_fma_f16 v5, v68, v102, v5
	v_lshrrev_b32_e32 v68, 16, v66
	v_mul_f16_sdwa v71, v68, v215 dst_sel:DWORD dst_unused:UNUSED_PAD src0_sel:DWORD src1_sel:WORD_1
	v_fma_f16 v71, v66, v215, -v71
	v_mul_f16_sdwa v66, v66, v215 dst_sel:DWORD dst_unused:UNUSED_PAD src0_sel:DWORD src1_sel:WORD_1
	v_fma_f16 v66, v68, v215, v66
	v_lshrrev_b32_e32 v68, 16, v7
	v_add_f16_e32 v76, v72, v73
	v_mul_f16_sdwa v72, v68, v216 dst_sel:DWORD dst_unused:UNUSED_PAD src0_sel:DWORD src1_sel:WORD_1
	v_fma_f16 v72, v7, v216, -v72
	v_mul_f16_sdwa v7, v7, v216 dst_sel:DWORD dst_unused:UNUSED_PAD src0_sel:DWORD src1_sel:WORD_1
	v_fma_f16 v7, v68, v216, v7
	v_add_f16_e32 v68, v64, v72
	v_sub_f16_e32 v64, v64, v72
	v_add_f16_e32 v72, v63, v7
	v_sub_f16_e32 v7, v63, v7
	;; [unrolled: 2-line block ×6, first 2 shown]
	v_add_f16_e32 v65, v63, v68
	v_add_f16_e32 v73, v71, v72
	v_fma_f16 v115, v78, s12, v81
	v_pack_b32_f16 v75, v75, v76
	v_add_f16_e32 v65, v66, v65
	v_add_f16_e32 v73, v70, v73
	;; [unrolled: 1-line block ×3, first 2 shown]
	v_fma_f16 v117, v85, s14, v117
	v_fma_f16 v118, v113, s14, v118
	ds_write2_b32 v18, v74, v75 offset0:21 offset1:70
	v_add_f16_e32 v74, v65, v4
	v_add_f16_sdwa v4, v73, v4 dst_sel:DWORD dst_unused:UNUSED_PAD src0_sel:DWORD src1_sel:WORD_1
	v_add_f16_e32 v119, v118, v115
	v_sub_f16_e32 v120, v116, v117
	v_lshlrev_b32_e32 v75, 16, v4
	v_fma_f16 v4, v73, s6, v4
	v_sub_f16_e32 v73, v68, v66
	v_add_f16_e32 v76, v69, v67
	v_sub_f16_e32 v77, v69, v67
	v_sub_f16_e32 v80, v5, v6
	v_pack_b32_f16 v119, v119, v120
	v_add_u32_e32 v17, 0x1800, v16
	v_or_b32_e32 v75, v75, v74
	v_fma_f16 v65, v65, s6, v74
	v_sub_f16_e32 v66, v66, v63
	v_sub_f16_e32 v74, v72, v70
	;; [unrolled: 1-line block ×4, first 2 shown]
	v_add_f16_e32 v78, v5, v6
	v_add_f16_e32 v76, v76, v64
	v_mul_f16_e32 v73, 0x3a52, v73
	v_mul_f16_e32 v77, 0xb846, v77
	;; [unrolled: 1-line block ×3, first 2 shown]
	v_sub_f16_e32 v64, v67, v64
	v_sub_f16_e32 v6, v6, v7
	buffer_store_dword v17, off, s[20:23], 0 offset:212 ; 4-byte Folded Spill
	ds_write2_b32 v17, v84, v119 offset0:179 offset1:228
	v_mov_b32_e32 v17, v16
	v_sub_f16_e32 v5, v7, v5
	v_add_f16_e32 v78, v78, v7
	v_mul_f16_e32 v74, 0x3a52, v74
	v_fma_f16 v81, v66, s12, v73
	v_add_u32_e32 v223, 0x2000, v11
	v_mov_b32_e32 v16, v11
	v_sub_f16_e32 v11, v63, v68
	v_sub_f16_e32 v63, v71, v72
	v_mul_f16_e32 v7, 0x2b26, v66
	v_mul_f16_e32 v66, 0x2b26, v70
	v_fma_f16 v67, v64, s15, -v77
	v_mul_f16_e32 v64, 0xbb00, v64
	v_fma_f16 v68, v6, s15, -v80
	v_mul_f16_e32 v6, 0xbb00, v6
	v_fma_f16 v82, v70, s12, v74
	v_fma_f16 v84, v5, s7, v80
	v_fma_f16 v7, v11, s13, -v7
	v_fma_f16 v11, v11, s1, -v73
	;; [unrolled: 1-line block ×4, first 2 shown]
	v_fma_f16 v64, v69, s0, v64
	v_fma_f16 v5, v5, s0, v6
	v_add_f16_e32 v82, v82, v4
	v_add_f16_e32 v6, v7, v65
	;; [unrolled: 1-line block ×5, first 2 shown]
	v_fma_f16 v64, v76, s14, v64
	v_fma_f16 v5, v78, s14, v5
	v_add_f16_e32 v81, v81, v65
	v_fma_f16 v63, v76, s14, v67
	v_fma_f16 v65, v78, s14, v68
	v_add_f16_e32 v66, v5, v7
	v_sub_f16_e32 v67, v4, v64
	v_pack_b32_f16 v66, v66, v67
	v_sub_f16_e32 v67, v6, v65
	v_add_f16_e32 v68, v63, v11
	v_add_f16_e32 v6, v65, v6
	v_sub_f16_e32 v11, v11, v63
	v_sub_f16_e32 v5, v7, v5
	v_add_f16_e32 v4, v64, v4
	v_pack_b32_f16 v6, v6, v11
	v_pack_b32_f16 v4, v5, v4
	ds_write2_b32 v223, v6, v4 offset0:206 offset1:255
	v_sub_f16_e32 v4, v8, v62
	v_add_f16_e32 v5, v10, v9
	v_sub_f16_e32 v6, v127, v130
	v_add_f16_e32 v7, v129, v128
	v_pack_b32_f16 v4, v4, v5
	v_fma_f16 v83, v69, s7, v77
	v_sub_f16_e32 v8, v123, v126
	v_add_f16_e32 v9, v125, v124
	ds_write_b32 v0, v4 offset:3920
	v_pack_b32_f16 v4, v6, v7
	v_fma_f16 v83, v76, s14, v83
	v_fma_f16 v84, v78, s14, v84
	v_sub_f16_e32 v10, v115, v118
	v_add_f16_e32 v11, v117, v116
	ds_write_b32 v1, v4 offset:5292
	v_pack_b32_f16 v4, v8, v9
	v_add_f16_e32 v85, v84, v81
	v_sub_f16_e32 v86, v82, v83
	v_sub_f16_e32 v62, v81, v84
	v_add_f16_e32 v63, v83, v82
	ds_write_b32 v3, v4 offset:6664
	v_pack_b32_f16 v4, v10, v11
	v_pack_b32_f16 v85, v85, v86
	;; [unrolled: 1-line block ×3, first 2 shown]
	ds_write_b32 v17, v4 offset:8036
	v_pack_b32_f16 v4, v62, v63
	buffer_store_dword v18, off, s[20:23], 0 offset:216 ; 4-byte Folded Spill
	buffer_store_dword v17, off, s[20:23], 0 offset:220 ; 4-byte Folded Spill
	;; [unrolled: 1-line block ×3, first 2 shown]
	ds_write2_b32 v223, v75, v85 offset0:10 offset1:59
	ds_write2_b32 v223, v66, v67 offset0:108 offset1:157
	ds_write_b32 v16, v4 offset:9408
	s_waitcnt lgkmcnt(0)
	; wave barrier
	s_waitcnt lgkmcnt(0)
	global_load_dwordx4 v[103:106], v[60:61], off offset:1344
	v_mad_u64_u32 v[68:69], s[2:3], v79, 24, s[2:3]
	global_load_dwordx4 v[107:110], v[68:69], off offset:1344
	global_load_dwordx2 v[170:171], v[60:61], off offset:1360
	global_load_dwordx2 v[174:175], v[68:69], off offset:1360
	ds_read2_b32 v[60:61], v185 offset0:174 offset1:223
	ds_read2_b32 v[62:63], v188 offset0:92 offset1:141
	;; [unrolled: 1-line block ×3, first 2 shown]
	ds_read2_b32 v[127:128], v134 offset1:49
	v_mov_b32_e32 v8, v137
	s_waitcnt lgkmcnt(3)
	v_lshrrev_b32_e32 v4, 16, v60
	s_waitcnt lgkmcnt(2)
	v_lshrrev_b32_e32 v65, 16, v63
	v_mov_b32_e32 v10, v2
	v_add_u32_e32 v16, 0xa00, v134
	s_movk_i32 s2, 0x498
	v_mov_b32_e32 v220, v213
	v_add_u32_e32 v11, 0x2200, v134
	v_mov_b32_e32 v41, v10
	s_mov_b32 s3, 0xbb00
	s_waitcnt vmcnt(3)
	v_mul_f16_sdwa v5, v60, v104 dst_sel:DWORD dst_unused:UNUSED_PAD src0_sel:DWORD src1_sel:WORD_1
	v_fma_f16 v5, v4, v104, v5
	v_mul_f16_sdwa v4, v4, v104 dst_sel:DWORD dst_unused:UNUSED_PAD src0_sel:DWORD src1_sel:WORD_1
	v_fma_f16 v4, v60, v104, -v4
	v_lshrrev_b32_e32 v60, 16, v61
	s_waitcnt vmcnt(2)
	v_mul_f16_sdwa v64, v60, v108 dst_sel:DWORD dst_unused:UNUSED_PAD src0_sel:DWORD src1_sel:WORD_1
	v_fma_f16 v67, v61, v108, -v64
	v_mul_f16_sdwa v61, v61, v108 dst_sel:DWORD dst_unused:UNUSED_PAD src0_sel:DWORD src1_sel:WORD_1
	v_fma_f16 v72, v60, v108, v61
	v_lshrrev_b32_e32 v60, 16, v62
	v_mul_f16_sdwa v61, v62, v106 dst_sel:DWORD dst_unused:UNUSED_PAD src0_sel:DWORD src1_sel:WORD_1
	v_fma_f16 v64, v60, v106, v61
	v_mul_f16_sdwa v60, v60, v106 dst_sel:DWORD dst_unused:UNUSED_PAD src0_sel:DWORD src1_sel:WORD_1
	v_fma_f16 v62, v62, v106, -v60
	ds_read2_b32 v[60:61], v183 offset0:10 offset1:59
	v_mul_f16_sdwa v66, v65, v110 dst_sel:DWORD dst_unused:UNUSED_PAD src0_sel:DWORD src1_sel:WORD_1
	v_fma_f16 v73, v63, v110, -v66
	v_mul_f16_sdwa v63, v63, v110 dst_sel:DWORD dst_unused:UNUSED_PAD src0_sel:DWORD src1_sel:WORD_1
	v_fma_f16 v74, v65, v110, v63
	s_waitcnt lgkmcnt(0)
	v_lshrrev_b32_e32 v63, 16, v60
	s_waitcnt vmcnt(1)
	v_mul_f16_sdwa v65, v60, v171 dst_sel:DWORD dst_unused:UNUSED_PAD src0_sel:DWORD src1_sel:WORD_1
	v_fma_f16 v65, v63, v171, v65
	v_mul_f16_sdwa v63, v63, v171 dst_sel:DWORD dst_unused:UNUSED_PAD src0_sel:DWORD src1_sel:WORD_1
	v_fma_f16 v60, v60, v171, -v63
	v_lshrrev_b32_e32 v63, 16, v61
	s_waitcnt vmcnt(0)
	v_mul_f16_sdwa v66, v63, v175 dst_sel:DWORD dst_unused:UNUSED_PAD src0_sel:DWORD src1_sel:WORD_1
	v_fma_f16 v79, v61, v175, -v66
	v_mul_f16_sdwa v61, v61, v175 dst_sel:DWORD dst_unused:UNUSED_PAD src0_sel:DWORD src1_sel:WORD_1
	v_fma_f16 v115, v63, v175, v61
	v_lshrrev_b32_e32 v61, 16, v124
	v_mul_f16_sdwa v63, v124, v103 dst_sel:DWORD dst_unused:UNUSED_PAD src0_sel:DWORD src1_sel:WORD_1
	v_fma_f16 v63, v61, v103, v63
	v_mul_f16_sdwa v61, v61, v103 dst_sel:DWORD dst_unused:UNUSED_PAD src0_sel:DWORD src1_sel:WORD_1
	v_fma_f16 v61, v124, v103, -v61
	ds_read2_b32 v[124:125], v186 offset0:130 offset1:179
	v_add_f16_e32 v66, v61, v60
	v_sub_f16_e32 v60, v61, v60
	v_add_f16_e32 v61, v63, v65
	v_sub_f16_e32 v63, v63, v65
	s_waitcnt lgkmcnt(0)
	v_lshrrev_b32_e32 v65, 16, v125
	v_mul_f16_sdwa v70, v125, v170 dst_sel:DWORD dst_unused:UNUSED_PAD src0_sel:DWORD src1_sel:WORD_1
	v_fma_f16 v70, v65, v170, v70
	v_mul_f16_sdwa v65, v65, v170 dst_sel:DWORD dst_unused:UNUSED_PAD src0_sel:DWORD src1_sel:WORD_1
	v_fma_f16 v65, v125, v170, -v65
	ds_read2_b32 v[125:126], v2 offset0:84 offset1:133
	v_add_f16_e32 v71, v4, v65
	v_sub_f16_e32 v4, v4, v65
	v_add_f16_e32 v65, v5, v70
	v_sub_f16_e32 v5, v5, v70
	s_waitcnt lgkmcnt(0)
	v_lshrrev_b32_e32 v70, 16, v126
	v_mul_f16_sdwa v75, v126, v105 dst_sel:DWORD dst_unused:UNUSED_PAD src0_sel:DWORD src1_sel:WORD_1
	v_fma_f16 v75, v70, v105, v75
	v_mul_f16_sdwa v70, v70, v105 dst_sel:DWORD dst_unused:UNUSED_PAD src0_sel:DWORD src1_sel:WORD_1
	v_fma_f16 v70, v126, v105, -v70
	v_add_f16_e32 v76, v70, v62
	v_sub_f16_e32 v62, v62, v70
	v_add_f16_e32 v70, v75, v64
	v_sub_f16_e32 v64, v64, v75
	;; [unrolled: 2-line block ×3, first 2 shown]
	v_sub_f16_e32 v66, v66, v76
	v_sub_f16_e32 v71, v76, v71
	v_add_f16_e32 v75, v76, v75
	v_add_f16_e32 v76, v65, v61
	v_sub_f16_e32 v78, v65, v61
	v_sub_f16_e32 v61, v61, v70
	;; [unrolled: 1-line block ×3, first 2 shown]
	v_add_f16_e32 v70, v70, v76
	v_add_f16_e32 v76, v62, v4
	v_sub_f16_e32 v80, v62, v4
	v_sub_f16_e32 v62, v60, v62
	;; [unrolled: 1-line block ×3, first 2 shown]
	v_add_f16_e32 v76, v76, v60
	v_add_f16_e32 v60, v64, v5
	v_add_f16_sdwa v116, v70, v127 dst_sel:DWORD dst_unused:UNUSED_PAD src0_sel:DWORD src1_sel:WORD_1
	v_sub_f16_e32 v113, v64, v5
	v_sub_f16_e32 v64, v63, v64
	;; [unrolled: 1-line block ×3, first 2 shown]
	v_add_f16_e32 v63, v60, v63
	v_add_f16_e32 v114, v75, v127
	v_lshlrev_b32_e32 v60, 16, v116
	v_or_b32_e32 v60, v60, v114
	v_fma_f16 v75, v75, s6, v114
	v_mul_f16_e32 v66, 0x3a52, v66
	v_mul_f16_e32 v114, 0x2b26, v71
	v_fma_f16 v71, v71, s12, v66
	v_fma_f16 v114, v77, s13, -v114
	v_fma_f16 v66, v77, s1, -v66
	v_mul_f16_e32 v61, 0x3a52, v61
	v_mul_f16_e32 v77, 0x2b26, v65
	v_fma_f16 v65, v65, s12, v61
	v_fma_f16 v77, v78, s13, -v77
	v_fma_f16 v61, v78, s1, -v61
	v_mul_f16_e32 v78, 0xb846, v80
	v_mul_f16_e32 v80, 0xbb00, v4
	v_fma_f16 v4, v4, s15, -v78
	v_fma_f16 v78, v62, s7, v78
	v_fma_f16 v62, v62, s0, v80
	v_mul_f16_e32 v80, 0xb846, v113
	v_mul_f16_e32 v113, 0xbb00, v5
	v_fma_f16 v5, v5, s15, -v80
	v_fma_f16 v80, v64, s7, v80
	v_fma_f16 v64, v64, s0, v113
	;; [unrolled: 1-line block ×3, first 2 shown]
	v_add_f16_e32 v113, v114, v75
	v_add_f16_e32 v66, v66, v75
	v_fma_f16 v80, v63, s14, v80
	v_fma_f16 v5, v63, s14, v5
	;; [unrolled: 1-line block ×3, first 2 shown]
	v_add_f16_e32 v71, v71, v75
	v_add_f16_e32 v65, v65, v70
	;; [unrolled: 1-line block ×4, first 2 shown]
	v_fma_f16 v116, v76, s14, v78
	v_fma_f16 v4, v76, s14, v4
	;; [unrolled: 1-line block ×3, first 2 shown]
	v_sub_f16_e32 v61, v113, v5
	v_add_f16_e32 v62, v5, v113
	v_add_f16_e32 v113, v63, v66
	v_sub_f16_e32 v76, v66, v63
	ds_read2_b32 v[63:64], v194 offset0:136 offset1:185
	v_sub_f16_e32 v127, v65, v116
	v_add_f16_e32 v121, v116, v65
	ds_read2_b32 v[65:66], v187 offset0:54 offset1:103
	v_sub_f16_e32 v114, v70, v78
	v_add_f16_e32 v78, v78, v70
	v_add_f16_e32 v126, v80, v71
	v_sub_f16_e32 v120, v71, v80
	ds_read2_b32 v[70:71], v189 offset0:100 offset1:149
	v_add_f16_e32 v77, v4, v75
	v_sub_f16_e32 v75, v75, v4
	s_waitcnt lgkmcnt(2)
	v_lshrrev_b32_e32 v4, 16, v63
	v_mul_f16_sdwa v5, v63, v107 dst_sel:DWORD dst_unused:UNUSED_PAD src0_sel:DWORD src1_sel:WORD_1
	v_fma_f16 v119, v4, v107, v5
	v_mul_f16_sdwa v4, v4, v107 dst_sel:DWORD dst_unused:UNUSED_PAD src0_sel:DWORD src1_sel:WORD_1
	v_fma_f16 v122, v63, v107, -v4
	s_waitcnt lgkmcnt(1)
	v_lshrrev_b32_e32 v4, 16, v65
	v_mul_f16_sdwa v5, v65, v109 dst_sel:DWORD dst_unused:UNUSED_PAD src0_sel:DWORD src1_sel:WORD_1
	v_fma_f16 v230, v4, v109, v5
	v_mul_f16_sdwa v4, v4, v109 dst_sel:DWORD dst_unused:UNUSED_PAD src0_sel:DWORD src1_sel:WORD_1
	v_fma_f16 v231, v65, v109, -v4
	;; [unrolled: 6-line block ×3, first 2 shown]
	v_add_f16_e32 v65, v122, v79
	v_add_f16_e32 v70, v67, v80
	;; [unrolled: 1-line block ×10, first 2 shown]
	v_pack_b32_f16 v4, v126, v127
	ds_write_b32 v134, v4 offset:1372
	v_pack_b32_f16 v4, v113, v114
	ds_write_b32 v134, v4 offset:2744
	;; [unrolled: 2-line block ×4, first 2 shown]
	v_pack_b32_f16 v4, v76, v78
	v_add_f16_sdwa v221, v198, v128 dst_sel:DWORD dst_unused:UNUSED_PAD src0_sel:DWORD src1_sel:WORD_1
	ds_write_b32 v134, v4 offset:6860
	v_pack_b32_f16 v4, v120, v121
	v_add_f16_e32 v218, v197, v128
	ds_write_b32 v134, v4 offset:8232
	v_lshlrev_b32_e32 v4, 16, v221
	v_or_b32_e32 v4, v4, v218
	ds_read_b32 v229, v134 offset:9408
	ds_read2_b32 v[224:225], v134 offset0:98 offset1:147
	ds_read2_b32 v[234:235], v184 offset0:16 offset1:65
	;; [unrolled: 1-line block ×14, first 2 shown]
	ds_write2_b32 v134, v60, v4 offset1:49
	global_load_dwordx2 v[113:114], v[68:69], off offset:2536
	global_load_dwordx4 v[60:63], v[68:69], off offset:2520
	v_lshrrev_b32_e32 v4, 16, v64
	v_sub_f16_e32 v67, v67, v80
	v_fma_f16 v80, v197, s6, v218
	v_sub_f16_e32 v72, v72, v233
	v_sub_f16_e32 v73, v73, v231
	;; [unrolled: 1-line block ×6, first 2 shown]
	v_add_f16_e32 v232, v73, v67
	v_mul_f16_e32 v230, 0x3a52, v230
	v_mul_f16_e32 v233, 0xb846, v233
	v_fma_f16 v246, v231, s12, v230
	v_mov_b32_e32 v213, v8
	s_waitcnt vmcnt(0)
	v_mul_f16_sdwa v5, v4, v60 dst_sel:DWORD dst_unused:UNUSED_PAD src0_sel:DWORD src1_sel:WORD_1
	v_fma_f16 v5, v64, v60, -v5
	v_mul_f16_sdwa v64, v64, v60 dst_sel:DWORD dst_unused:UNUSED_PAD src0_sel:DWORD src1_sel:WORD_1
	v_fma_f16 v4, v4, v60, v64
	v_lshrrev_b32_e32 v64, 16, v66
	v_mul_f16_sdwa v137, v64, v62 dst_sel:DWORD dst_unused:UNUSED_PAD src0_sel:DWORD src1_sel:WORD_1
	v_fma_f16 v137, v66, v62, -v137
	v_mul_f16_sdwa v66, v66, v62 dst_sel:DWORD dst_unused:UNUSED_PAD src0_sel:DWORD src1_sel:WORD_1
	v_fma_f16 v64, v64, v62, v66
	v_lshrrev_b32_e32 v66, 16, v71
	v_mul_f16_sdwa v226, v66, v113 dst_sel:DWORD dst_unused:UNUSED_PAD src0_sel:DWORD src1_sel:WORD_1
	v_fma_f16 v226, v71, v113, -v226
	v_mul_f16_sdwa v71, v71, v113 dst_sel:DWORD dst_unused:UNUSED_PAD src0_sel:DWORD src1_sel:WORD_1
	v_fma_f16 v66, v66, v113, v71
	v_sub_f16_e32 v71, v122, v79
	v_sub_f16_e32 v79, v119, v115
	s_waitcnt lgkmcnt(11)
	v_lshrrev_b32_e32 v119, 16, v238
	v_mul_f16_sdwa v122, v238, v114 dst_sel:DWORD dst_unused:UNUSED_PAD src0_sel:DWORD src1_sel:WORD_1
	v_fma_f16 v122, v119, v114, v122
	v_mul_f16_sdwa v119, v119, v114 dst_sel:DWORD dst_unused:UNUSED_PAD src0_sel:DWORD src1_sel:WORD_1
	v_fma_f16 v119, v238, v114, -v119
	v_fma_f16 v115, v198, s6, v221
	v_add_f16_e32 v197, v5, v119
	v_sub_f16_e32 v6, v5, v119
	v_add_f16_e32 v119, v4, v122
	v_sub_f16_e32 v5, v4, v122
	v_lshrrev_b32_e32 v122, 16, v234
	v_mul_f16_sdwa v198, v234, v61 dst_sel:DWORD dst_unused:UNUSED_PAD src0_sel:DWORD src1_sel:WORD_1
	v_fma_f16 v198, v122, v61, v198
	v_mul_f16_sdwa v122, v122, v61 dst_sel:DWORD dst_unused:UNUSED_PAD src0_sel:DWORD src1_sel:WORD_1
	v_fma_f16 v122, v234, v61, -v122
	v_add_f16_e32 v218, v122, v226
	v_sub_f16_e32 v122, v122, v226
	v_add_f16_e32 v221, v198, v66
	v_sub_f16_e32 v66, v198, v66
	v_lshrrev_b32_e32 v198, 16, v236
	v_mul_f16_sdwa v226, v236, v63 dst_sel:DWORD dst_unused:UNUSED_PAD src0_sel:DWORD src1_sel:WORD_1
	v_fma_f16 v226, v198, v63, v226
	v_mul_f16_sdwa v198, v198, v63 dst_sel:DWORD dst_unused:UNUSED_PAD src0_sel:DWORD src1_sel:WORD_1
	v_fma_f16 v198, v236, v63, -v198
	v_add_f16_e32 v227, v137, v198
	v_sub_f16_e32 v137, v198, v137
	v_add_f16_e32 v198, v64, v226
	v_sub_f16_e32 v64, v226, v64
	v_sub_f16_e32 v226, v65, v118
	;; [unrolled: 1-line block ×5, first 2 shown]
	v_add_f16_e32 v234, v74, v72
	v_sub_f16_e32 v74, v79, v74
	v_mul_f16_e32 v226, 0x3a52, v226
	v_mul_f16_e32 v236, 0xb846, v236
	v_add_f16_e32 v232, v232, v71
	v_add_f16_e32 v234, v234, v79
	v_fma_f16 v238, v118, s12, v226
	v_fma_f16 v247, v73, s7, v233
	;; [unrolled: 1-line block ×3, first 2 shown]
	v_add_f16_e32 v238, v238, v80
	v_add_f16_e32 v246, v246, v115
	v_fma_f16 v247, v232, s14, v247
	v_fma_f16 v248, v234, s14, v248
	v_add_f16_e32 v249, v248, v238
	v_sub_f16_e32 v250, v246, v247
	v_pack_b32_f16 v249, v249, v250
	v_add_f16_e32 v250, v218, v197
	v_add_f16_e32 v252, v221, v119
	;; [unrolled: 1-line block ×3, first 2 shown]
	v_sub_f16_e32 v251, v197, v227
	v_add_f16_e32 v252, v198, v252
	v_sub_f16_e32 v253, v119, v198
	v_add_f16_e32 v254, v137, v122
	v_sub_f16_e32 v255, v137, v122
	v_sub_f16_e32 v1, v64, v66
	;; [unrolled: 1-line block ×5, first 2 shown]
	v_add_f16_e32 v0, v64, v66
	v_sub_f16_e32 v2, v5, v64
	v_add_f16_e32 v3, v254, v6
	v_mul_f16_e32 v64, 0x3a52, v251
	v_mul_f16_e32 v251, 0x3a52, v253
	;; [unrolled: 1-line block ×4, first 2 shown]
	v_add_f16_e32 v254, v250, v224
	v_add_f16_sdwa v224, v252, v224 dst_sel:DWORD dst_unused:UNUSED_PAD src0_sel:DWORD src1_sel:WORD_1
	v_add_f16_e32 v4, v0, v5
	v_fma_f16 v250, v250, s6, v254
	v_fma_f16 v252, v252, s6, v224
	;; [unrolled: 1-line block ×6, first 2 shown]
	v_add_f16_e32 v255, v255, v250
	v_add_f16_e32 v228, v228, v252
	v_fma_f16 v222, v3, s14, v222
	v_fma_f16 v219, v4, s14, v219
	v_add_f16_e32 v0, v219, v255
	v_sub_f16_e32 v7, v228, v222
	v_pack_b32_f16 v0, v0, v7
	ds_write2_b32 v194, v249, v0 offset0:136 offset1:185
	v_sub_f16_e32 v0, v70, v65
	v_sub_f16_e32 v65, v67, v71
	;; [unrolled: 1-line block ×3, first 2 shown]
	v_mul_f16_e32 v71, 0xbb00, v67
	v_sub_f16_e32 v5, v66, v5
	v_sub_f16_e32 v7, v117, v116
	v_mul_f16_e32 v70, 0xbb00, v65
	v_fma_f16 v71, v74, s0, v71
	v_mul_f16_e32 v74, 0xbb00, v5
	v_fma_f16 v70, v73, s0, v70
	v_fma_f16 v2, v2, s0, v74
	v_fma_f16 v74, v0, s1, -v226
	v_fma_f16 v79, v7, s1, -v230
	v_sub_f16_e32 v6, v122, v6
	v_add_f16_e32 v74, v74, v80
	v_add_f16_e32 v79, v79, v115
	v_fma_f16 v70, v232, s14, v70
	v_fma_f16 v71, v234, s14, v71
	v_sub_f16_e32 v72, v218, v197
	v_sub_f16_e32 v73, v221, v119
	v_mul_f16_e32 v66, 0xbb00, v6
	v_add_f16_e32 v116, v71, v74
	v_sub_f16_e32 v117, v79, v70
	v_fma_f16 v66, v137, s0, v66
	v_pack_b32_f16 v116, v116, v117
	v_fma_f16 v64, v72, s1, -v64
	v_fma_f16 v117, v73, s1, -v251
	v_add_f16_e32 v119, v64, v250
	v_add_f16_e32 v117, v117, v252
	v_fma_f16 v122, v3, s14, v66
	v_fma_f16 v2, v4, s14, v2
	v_add_f16_e32 v64, v2, v119
	v_sub_f16_e32 v66, v117, v122
	v_pack_b32_f16 v64, v64, v66
	ds_write2_b32 v16, v116, v64 offset0:95 offset1:144
	v_mul_f16_e32 v64, 0x2b26, v118
	v_fma_f16 v0, v0, s13, -v64
	v_mul_f16_e32 v64, 0x2b26, v231
	v_fma_f16 v7, v7, s13, -v64
	v_fma_f16 v64, v65, s15, -v233
	;; [unrolled: 1-line block ×3, first 2 shown]
	v_mul_f16_e32 v66, 0x2b26, v227
	v_mul_f16_e32 v67, 0x2b26, v198
	v_add_f16_e32 v0, v0, v80
	v_add_f16_e32 v7, v7, v115
	v_fma_f16 v64, v232, s14, v64
	v_fma_f16 v65, v234, s14, v65
	v_fma_f16 v66, v72, s13, -v66
	v_fma_f16 v67, v73, s13, -v67
	v_fma_f16 v6, v6, s15, -v253
	v_fma_f16 v1, v5, s15, -v1
	v_add_f16_e32 v5, v66, v250
	v_add_f16_e32 v66, v67, v252
	v_fma_f16 v3, v3, s14, v6
	v_fma_f16 v1, v4, s14, v1
	v_sub_f16_e32 v4, v0, v65
	v_add_f16_e32 v6, v64, v7
	v_pack_b32_f16 v4, v4, v6
	v_sub_f16_e32 v6, v5, v1
	v_add_f16_e32 v67, v3, v66
	v_pack_b32_f16 v6, v6, v67
	ds_write2_b32 v187, v4, v6 offset0:54 offset1:103
	v_add_f16_e32 v0, v65, v0
	v_sub_f16_e32 v4, v7, v64
	v_sub_f16_e32 v3, v66, v3
	global_load_dwordx4 v[64:67], v[68:69], off offset:3696
	global_load_dwordx2 v[115:116], v[68:69], off offset:3712
	v_add_f16_e32 v1, v1, v5
	v_pack_b32_f16 v0, v0, v4
	v_pack_b32_f16 v1, v1, v3
	ds_write2_b32 v188, v0, v1 offset0:141 offset1:190
	v_add_f16_e32 v1, v70, v79
	v_add_co_u32_e32 v70, vcc, s2, v68
	v_sub_f16_e32 v0, v74, v71
	v_sub_f16_e32 v2, v119, v2
	v_add_f16_e32 v3, v122, v117
	v_addc_co_u32_e32 v71, vcc, 0, v69, vcc
	s_movk_i32 s2, 0x930
	v_pack_b32_f16 v0, v0, v1
	v_pack_b32_f16 v1, v2, v3
	v_add_co_u32_e32 v79, vcc, s2, v68
	ds_write2_b32 v189, v0, v1 offset0:100 offset1:149
	v_sub_f16_e32 v0, v238, v248
	v_add_f16_e32 v1, v247, v246
	v_sub_f16_e32 v2, v255, v219
	v_add_f16_e32 v3, v222, v228
	v_addc_co_u32_e32 v80, vcc, 0, v69, vcc
	s_movk_i32 s2, 0xdc8
	v_pack_b32_f16 v0, v0, v1
	v_pack_b32_f16 v1, v2, v3
	v_add_co_u32_e32 v197, vcc, s2, v68
	s_waitcnt lgkmcnt(14)
	v_lshrrev_b32_e32 v7, 16, v240
	ds_write2_b32 v183, v0, v1 offset0:59 offset1:108
	v_lshrrev_b32_e32 v0, 16, v235
	v_addc_co_u32_e32 v198, vcc, 0, v69, vcc
	s_movk_i32 s2, 0x2584
	s_waitcnt vmcnt(1)
	v_mul_f16_sdwa v68, v240, v64 dst_sel:DWORD dst_unused:UNUSED_PAD src0_sel:DWORD src1_sel:WORD_1
	v_mul_f16_sdwa v2, v235, v65 dst_sel:DWORD dst_unused:UNUSED_PAD src0_sel:DWORD src1_sel:WORD_1
	v_fma_f16 v72, v7, v64, v68
	v_lshrrev_b32_e32 v68, 16, v242
	v_mul_f16_sdwa v69, v242, v66 dst_sel:DWORD dst_unused:UNUSED_PAD src0_sel:DWORD src1_sel:WORD_1
	v_mul_f16_sdwa v1, v0, v65 dst_sel:DWORD dst_unused:UNUSED_PAD src0_sel:DWORD src1_sel:WORD_1
	v_fma_f16 v0, v0, v65, v2
	v_lshrrev_b32_e32 v2, 16, v237
	v_mul_f16_sdwa v4, v237, v67 dst_sel:DWORD dst_unused:UNUSED_PAD src0_sel:DWORD src1_sel:WORD_1
	v_fma_f16 v73, v68, v66, v69
	v_mul_f16_sdwa v68, v68, v66 dst_sel:DWORD dst_unused:UNUSED_PAD src0_sel:DWORD src1_sel:WORD_1
	v_mul_f16_sdwa v3, v2, v67 dst_sel:DWORD dst_unused:UNUSED_PAD src0_sel:DWORD src1_sel:WORD_1
	v_fma_f16 v2, v2, v67, v4
	v_lshrrev_b32_e32 v4, 16, v239
	v_fma_f16 v74, v242, v66, -v68
	s_waitcnt lgkmcnt(14)
	v_lshrrev_b32_e32 v68, 16, v244
	s_waitcnt vmcnt(0)
	v_mul_f16_sdwa v69, v244, v115 dst_sel:DWORD dst_unused:UNUSED_PAD src0_sel:DWORD src1_sel:WORD_1
	v_mul_f16_sdwa v5, v4, v116 dst_sel:DWORD dst_unused:UNUSED_PAD src0_sel:DWORD src1_sel:WORD_1
	;; [unrolled: 1-line block ×3, first 2 shown]
	v_fma_f16 v119, v68, v115, v69
	v_mul_f16_sdwa v68, v68, v115 dst_sel:DWORD dst_unused:UNUSED_PAD src0_sel:DWORD src1_sel:WORD_1
	v_fma_f16 v1, v235, v65, -v1
	v_fma_f16 v5, v239, v116, -v5
	v_mul_f16_sdwa v6, v239, v116 dst_sel:DWORD dst_unused:UNUSED_PAD src0_sel:DWORD src1_sel:WORD_1
	v_fma_f16 v7, v240, v64, -v7
	v_fma_f16 v122, v244, v115, -v68
	;; [unrolled: 1-line block ×3, first 2 shown]
	v_fma_f16 v4, v4, v116, v6
	v_add_f16_e32 v137, v7, v5
	v_add_f16_e32 v218, v1, v122
	v_lshlrev_b32_e32 v6, 16, v224
	v_add_f16_e32 v219, v74, v3
	v_add_f16_e32 v68, v218, v137
	;; [unrolled: 1-line block ×9, first 2 shown]
	v_add_f16_sdwa v225, v227, v225 dst_sel:DWORD dst_unused:UNUSED_PAD src0_sel:DWORD src1_sel:WORD_1
	v_lshlrev_b32_e32 v68, 16, v225
	v_or_b32_e32 v6, v6, v254
	v_or_b32_e32 v68, v68, v228
	ds_write2_b32 v134, v6, v68 offset0:98 offset1:147
	global_load_dwordx2 v[117:118], v[70:71], off offset:3712
	s_nop 0
	global_load_dwordx4 v[68:71], v[70:71], off offset:3696
	v_lshrrev_b32_e32 v6, 16, v241
	v_sub_f16_e32 v3, v3, v74
	v_sub_f16_e32 v2, v2, v73
	s_waitcnt lgkmcnt(11)
	v_lshrrev_b32_e32 v73, 16, v77
	v_sub_f16_e32 v4, v72, v4
	v_sub_f16_e32 v1, v1, v122
	;; [unrolled: 1-line block ×3, first 2 shown]
	v_fma_f16 v72, v227, s6, v225
	v_lshrrev_b32_e32 v225, 16, v120
	v_sub_f16_e32 v5, v7, v5
	v_fma_f16 v7, v221, s6, v228
	s_waitcnt vmcnt(1)
	v_mul_f16_sdwa v74, v77, v118 dst_sel:DWORD dst_unused:UNUSED_PAD src0_sel:DWORD src1_sel:WORD_1
	s_waitcnt vmcnt(0)
	v_mul_f16_sdwa v231, v241, v68 dst_sel:DWORD dst_unused:UNUSED_PAD src0_sel:DWORD src1_sel:WORD_1
	v_mul_f16_sdwa v230, v6, v68 dst_sel:DWORD dst_unused:UNUSED_PAD src0_sel:DWORD src1_sel:WORD_1
	v_fma_f16 v6, v6, v68, v231
	v_lshrrev_b32_e32 v231, 16, v243
	v_mul_f16_sdwa v233, v243, v70 dst_sel:DWORD dst_unused:UNUSED_PAD src0_sel:DWORD src1_sel:WORD_1
	v_fma_f16 v74, v73, v118, v74
	v_mul_f16_sdwa v232, v231, v70 dst_sel:DWORD dst_unused:UNUSED_PAD src0_sel:DWORD src1_sel:WORD_1
	v_fma_f16 v231, v231, v70, v233
	v_lshrrev_b32_e32 v233, 16, v245
	v_mul_f16_sdwa v235, v245, v117 dst_sel:DWORD dst_unused:UNUSED_PAD src0_sel:DWORD src1_sel:WORD_1
	v_mul_f16_sdwa v73, v73, v118 dst_sel:DWORD dst_unused:UNUSED_PAD src0_sel:DWORD src1_sel:WORD_1
	v_add_f16_e32 v119, v6, v74
	v_sub_f16_e32 v6, v6, v74
	v_lshrrev_b32_e32 v74, 16, v132
	v_mul_f16_sdwa v122, v132, v69 dst_sel:DWORD dst_unused:UNUSED_PAD src0_sel:DWORD src1_sel:WORD_1
	v_mul_f16_sdwa v227, v120, v71 dst_sel:DWORD dst_unused:UNUSED_PAD src0_sel:DWORD src1_sel:WORD_1
	v_fma_f16 v230, v241, v68, -v230
	v_mul_f16_sdwa v234, v233, v117 dst_sel:DWORD dst_unused:UNUSED_PAD src0_sel:DWORD src1_sel:WORD_1
	v_fma_f16 v233, v233, v117, v235
	v_fma_f16 v73, v77, v118, -v73
	v_fma_f16 v122, v74, v69, v122
	v_mul_f16_sdwa v74, v74, v69 dst_sel:DWORD dst_unused:UNUSED_PAD src0_sel:DWORD src1_sel:WORD_1
	v_fma_f16 v227, v225, v71, v227
	v_mul_f16_sdwa v225, v225, v71 dst_sel:DWORD dst_unused:UNUSED_PAD src0_sel:DWORD src1_sel:WORD_1
	v_fma_f16 v232, v243, v70, -v232
	v_fma_f16 v234, v245, v117, -v234
	v_add_f16_e32 v77, v230, v73
	v_sub_f16_e32 v73, v230, v73
	v_fma_f16 v74, v132, v69, -v74
	v_add_f16_e32 v221, v122, v233
	v_sub_f16_e32 v122, v122, v233
	;; [unrolled: 3-line block ×3, first 2 shown]
	v_sub_f16_e32 v230, v137, v219
	v_sub_f16_e32 v231, v222, v226
	;; [unrolled: 1-line block ×4, first 2 shown]
	v_add_f16_e32 v132, v74, v234
	v_sub_f16_e32 v74, v74, v234
	v_add_f16_e32 v225, v232, v120
	v_sub_f16_e32 v120, v120, v232
	v_sub_f16_e32 v219, v219, v218
	;; [unrolled: 1-line block ×3, first 2 shown]
	v_add_f16_e32 v232, v3, v1
	v_sub_f16_e32 v3, v5, v3
	v_add_f16_e32 v234, v2, v0
	v_sub_f16_e32 v2, v4, v2
	v_mul_f16_e32 v230, 0x3a52, v230
	v_mul_f16_e32 v231, 0x3a52, v231
	;; [unrolled: 1-line block ×4, first 2 shown]
	v_add_f16_e32 v232, v232, v5
	v_add_f16_e32 v234, v234, v4
	v_fma_f16 v236, v219, s12, v230
	v_fma_f16 v237, v226, s12, v231
	;; [unrolled: 1-line block ×4, first 2 shown]
	v_add_f16_e32 v245, v120, v74
	v_sub_f16_e32 v1, v1, v5
	v_add_f16_e32 v236, v236, v7
	v_add_f16_e32 v237, v237, v72
	v_fma_f16 v238, v232, s14, v238
	v_fma_f16 v239, v234, s14, v239
	v_sub_f16_e32 v246, v120, v74
	v_sub_f16_e32 v120, v73, v120
	v_add_f16_e32 v245, v245, v73
	v_sub_f16_e32 v0, v0, v4
	v_mul_f16_e32 v4, 0xbb00, v1
	v_sub_f16_e32 v73, v74, v73
	v_add_f16_e32 v240, v239, v236
	v_sub_f16_e32 v241, v237, v238
	v_mul_f16_e32 v246, 0xb846, v246
	v_sub_f16_e32 v137, v218, v137
	v_sub_f16_e32 v218, v224, v222
	v_fma_f16 v3, v3, s0, v4
	v_mul_f16_e32 v4, 0xbb00, v0
	v_mul_f16_e32 v74, 0xbb00, v73
	v_pack_b32_f16 v240, v240, v241
	v_add_f16_e32 v241, v132, v77
	v_add_f16_e32 v243, v221, v119
	v_sub_f16_e32 v244, v119, v228
	v_add_f16_e32 v247, v227, v122
	v_fma_f16 v252, v120, s7, v246
	v_fma_f16 v2, v2, s0, v4
	v_sub_f16_e32 v5, v221, v119
	v_fma_f16 v74, v120, s0, v74
	v_fma_f16 v119, v137, s1, -v230
	v_fma_f16 v120, v218, s1, -v231
	v_add_f16_e32 v241, v225, v241
	v_sub_f16_e32 v242, v77, v225
	v_add_f16_e32 v243, v228, v243
	v_sub_f16_e32 v248, v227, v122
	v_sub_f16_e32 v227, v6, v227
	v_add_f16_e32 v247, v247, v6
	v_sub_f16_e32 v6, v122, v6
	v_add_f16_e32 v119, v119, v7
	v_add_f16_e32 v120, v120, v72
	v_fma_f16 v3, v232, s14, v3
	v_fma_f16 v2, v234, s14, v2
	v_sub_f16_e32 v225, v225, v132
	v_mul_f16_e32 v242, 0x3a52, v242
	v_mul_f16_e32 v244, 0x3a52, v244
	v_add_f16_e32 v249, v241, v75
	v_add_f16_sdwa v250, v243, v75 dst_sel:DWORD dst_unused:UNUSED_PAD src0_sel:DWORD src1_sel:WORD_1
	v_sub_f16_e32 v4, v132, v77
	v_mul_f16_e32 v77, 0xbb00, v6
	v_add_f16_e32 v122, v2, v119
	v_sub_f16_e32 v132, v120, v3
	v_sub_f16_e32 v228, v228, v221
	v_fma_f16 v241, v241, s6, v249
	v_fma_f16 v75, v243, s6, v250
	;; [unrolled: 1-line block ×3, first 2 shown]
	v_pack_b32_f16 v122, v122, v132
	v_fma_f16 v132, v4, s1, -v242
	v_fma_f16 v221, v5, s1, -v244
	v_add_f16_e32 v132, v132, v241
	v_add_f16_e32 v221, v221, v75
	v_fma_f16 v222, v245, s14, v74
	v_fma_f16 v77, v247, s14, v77
	v_add_f16_e32 v74, v77, v132
	v_sub_f16_e32 v224, v221, v222
	v_pack_b32_f16 v74, v74, v224
	ds_write2_b32 v184, v122, v74 offset0:65 offset1:114
	v_mul_f16_e32 v74, 0x2b26, v219
	v_fma_f16 v74, v137, s13, -v74
	v_mul_f16_e32 v248, 0xb846, v248
	v_mul_f16_e32 v122, 0x2b26, v226
	v_add_f16_e32 v7, v74, v7
	v_mul_f16_e32 v74, 0x2b26, v225
	v_fma_f16 v243, v225, s12, v242
	v_fma_f16 v251, v228, s12, v244
	;; [unrolled: 1-line block ×3, first 2 shown]
	v_fma_f16 v122, v218, s13, -v122
	v_fma_f16 v1, v1, s15, -v233
	;; [unrolled: 1-line block ×4, first 2 shown]
	v_mul_f16_e32 v74, 0x2b26, v228
	v_add_f16_e32 v243, v243, v241
	v_add_f16_e32 v251, v251, v75
	v_fma_f16 v252, v245, s14, v252
	v_fma_f16 v253, v247, s14, v253
	v_add_f16_e32 v72, v122, v72
	v_fma_f16 v1, v232, s14, v1
	v_fma_f16 v0, v234, s14, v0
	v_fma_f16 v5, v5, s13, -v74
	v_fma_f16 v73, v73, s15, -v246
	;; [unrolled: 1-line block ×3, first 2 shown]
	v_add_f16_e32 v254, v253, v243
	v_sub_f16_e32 v255, v251, v252
	v_add_f16_e32 v4, v4, v241
	v_add_f16_e32 v5, v5, v75
	v_fma_f16 v73, v245, s14, v73
	v_fma_f16 v6, v247, s14, v6
	v_sub_f16_e32 v74, v7, v0
	v_add_f16_e32 v75, v1, v72
	v_pack_b32_f16 v254, v254, v255
	v_pack_b32_f16 v74, v74, v75
	v_sub_f16_e32 v75, v4, v6
	v_add_f16_e32 v122, v73, v5
	v_add_f16_e32 v0, v0, v7
	v_sub_f16_e32 v1, v72, v1
	v_add_f16_e32 v4, v6, v4
	v_sub_f16_e32 v5, v5, v73
	ds_write2_b32 v8, v240, v254 offset0:106 offset1:155
	v_pack_b32_f16 v75, v75, v122
	v_pack_b32_f16 v0, v0, v1
	;; [unrolled: 1-line block ×3, first 2 shown]
	v_add_u32_e32 v8, 0x1600, v134
	ds_write2_b32 v187, v74, v75 offset0:152 offset1:201
	ds_write2_b32 v8, v0, v1 offset0:111 offset1:160
	v_sub_f16_e32 v0, v119, v2
	v_add_f16_e32 v1, v3, v120
	global_load_dwordx4 v[72:75], v[79:80], off offset:3696
	global_load_dwordx2 v[119:120], v[79:80], off offset:3712
	v_sub_f16_e32 v2, v132, v77
	v_add_f16_e32 v3, v222, v221
	v_pack_b32_f16 v0, v0, v1
	v_pack_b32_f16 v1, v2, v3
	ds_write2_b32 v182, v0, v1 offset0:70 offset1:119
	v_sub_f16_e32 v0, v236, v239
	v_add_f16_e32 v1, v238, v237
	v_sub_f16_e32 v2, v243, v253
	v_add_f16_e32 v3, v252, v251
	v_pack_b32_f16 v0, v0, v1
	v_pack_b32_f16 v1, v2, v3
	ds_write2_b32 v183, v0, v1 offset0:157 offset1:206
	v_lshrrev_b32_e32 v0, 16, v133
	s_waitcnt lgkmcnt(14)
	v_lshrrev_b32_e32 v7, 16, v130
	s_waitcnt vmcnt(1)
	v_mul_f16_sdwa v2, v133, v73 dst_sel:DWORD dst_unused:UNUSED_PAD src0_sel:DWORD src1_sel:WORD_1
	v_mul_f16_sdwa v1, v0, v73 dst_sel:DWORD dst_unused:UNUSED_PAD src0_sel:DWORD src1_sel:WORD_1
	v_fma_f16 v0, v0, v73, v2
	v_lshrrev_b32_e32 v2, 16, v121
	v_mul_f16_sdwa v4, v121, v75 dst_sel:DWORD dst_unused:UNUSED_PAD src0_sel:DWORD src1_sel:WORD_1
	v_mul_f16_sdwa v3, v2, v75 dst_sel:DWORD dst_unused:UNUSED_PAD src0_sel:DWORD src1_sel:WORD_1
	v_fma_f16 v2, v2, v75, v4
	v_lshrrev_b32_e32 v4, 16, v78
	s_waitcnt vmcnt(0)
	v_mul_f16_sdwa v5, v4, v120 dst_sel:DWORD dst_unused:UNUSED_PAD src0_sel:DWORD src1_sel:WORD_1
	v_mul_f16_sdwa v77, v130, v72 dst_sel:DWORD dst_unused:UNUSED_PAD src0_sel:DWORD src1_sel:WORD_1
	v_fma_f16 v5, v78, v120, -v5
	v_mul_f16_sdwa v6, v78, v120 dst_sel:DWORD dst_unused:UNUSED_PAD src0_sel:DWORD src1_sel:WORD_1
	v_fma_f16 v80, v7, v72, v77
	v_mul_f16_sdwa v7, v7, v72 dst_sel:DWORD dst_unused:UNUSED_PAD src0_sel:DWORD src1_sel:WORD_1
	v_lshrrev_b32_e32 v77, 16, v128
	v_mul_f16_sdwa v78, v128, v74 dst_sel:DWORD dst_unused:UNUSED_PAD src0_sel:DWORD src1_sel:WORD_1
	v_fma_f16 v7, v130, v72, -v7
	v_fma_f16 v130, v77, v74, v78
	v_mul_f16_sdwa v77, v77, v74 dst_sel:DWORD dst_unused:UNUSED_PAD src0_sel:DWORD src1_sel:WORD_1
	v_fma_f16 v128, v128, v74, -v77
	v_lshrrev_b32_e32 v77, 16, v126
	v_mul_f16_sdwa v78, v126, v119 dst_sel:DWORD dst_unused:UNUSED_PAD src0_sel:DWORD src1_sel:WORD_1
	v_fma_f16 v132, v77, v119, v78
	v_mul_f16_sdwa v77, v77, v119 dst_sel:DWORD dst_unused:UNUSED_PAD src0_sel:DWORD src1_sel:WORD_1
	v_fma_f16 v1, v133, v73, -v1
	v_fma_f16 v126, v126, v119, -v77
	;; [unrolled: 1-line block ×3, first 2 shown]
	v_fma_f16 v4, v4, v120, v6
	v_add_f16_e32 v133, v7, v5
	v_add_f16_e32 v137, v1, v126
	;; [unrolled: 1-line block ×10, first 2 shown]
	v_add_f16_sdwa v227, v225, v76 dst_sel:DWORD dst_unused:UNUSED_PAD src0_sel:DWORD src1_sel:WORD_1
	v_lshlrev_b32_e32 v6, 16, v250
	v_add_f16_e32 v226, v219, v76
	v_lshlrev_b32_e32 v76, 16, v227
	v_or_b32_e32 v6, v6, v249
	v_or_b32_e32 v76, v76, v226
	ds_write2_b32 v134, v6, v76 offset0:196 offset1:245
	global_load_dwordx2 v[121:122], v[197:198], off offset:3712
	global_load_dwordx4 v[76:79], v[197:198], off offset:3696
	v_lshrrev_b32_e32 v6, 16, v131
	v_sub_f16_e32 v1, v1, v126
	v_sub_f16_e32 v0, v0, v132
	;; [unrolled: 1-line block ×6, first 2 shown]
	v_fma_f16 v80, v225, s6, v227
	v_sub_f16_e32 v227, v133, v218
	v_sub_f16_e32 v218, v218, v137
	v_mul_f16_e32 v227, 0x3a52, v227
	v_fma_f16 v7, v219, s6, v226
	v_fma_f16 v233, v218, s12, v227
	v_add_f16_e32 v233, v233, v7
	v_sub_f16_e32 v133, v137, v133
	v_sub_f16_e32 v137, v222, v221
	s_waitcnt vmcnt(0)
	v_mul_f16_sdwa v197, v6, v76 dst_sel:DWORD dst_unused:UNUSED_PAD src0_sel:DWORD src1_sel:WORD_1
	v_fma_f16 v197, v131, v76, -v197
	v_mul_f16_sdwa v131, v131, v76 dst_sel:DWORD dst_unused:UNUSED_PAD src0_sel:DWORD src1_sel:WORD_1
	v_fma_f16 v6, v6, v76, v131
	v_lshrrev_b32_e32 v131, 16, v125
	v_mul_f16_sdwa v198, v131, v77 dst_sel:DWORD dst_unused:UNUSED_PAD src0_sel:DWORD src1_sel:WORD_1
	v_fma_f16 v198, v125, v77, -v198
	v_mul_f16_sdwa v125, v125, v77 dst_sel:DWORD dst_unused:UNUSED_PAD src0_sel:DWORD src1_sel:WORD_1
	v_fma_f16 v125, v131, v77, v125
	v_lshrrev_b32_e32 v131, 16, v129
	v_mul_f16_sdwa v228, v131, v78 dst_sel:DWORD dst_unused:UNUSED_PAD src0_sel:DWORD src1_sel:WORD_1
	v_fma_f16 v228, v129, v78, -v228
	v_mul_f16_sdwa v129, v129, v78 dst_sel:DWORD dst_unused:UNUSED_PAD src0_sel:DWORD src1_sel:WORD_1
	v_fma_f16 v129, v131, v78, v129
	v_lshrrev_b32_e32 v131, 16, v124
	v_mul_f16_sdwa v230, v131, v79 dst_sel:DWORD dst_unused:UNUSED_PAD src0_sel:DWORD src1_sel:WORD_1
	v_fma_f16 v230, v124, v79, -v230
	v_mul_f16_sdwa v124, v124, v79 dst_sel:DWORD dst_unused:UNUSED_PAD src0_sel:DWORD src1_sel:WORD_1
	v_fma_f16 v124, v131, v79, v124
	v_lshrrev_b32_e32 v131, 16, v127
	v_mul_f16_sdwa v231, v131, v121 dst_sel:DWORD dst_unused:UNUSED_PAD src0_sel:DWORD src1_sel:WORD_1
	v_fma_f16 v231, v127, v121, -v231
	v_mul_f16_sdwa v127, v127, v121 dst_sel:DWORD dst_unused:UNUSED_PAD src0_sel:DWORD src1_sel:WORD_1
	v_fma_f16 v127, v131, v121, v127
	v_lshrrev_b32_e32 v131, 16, v229
	v_mul_f16_sdwa v232, v131, v122 dst_sel:DWORD dst_unused:UNUSED_PAD src0_sel:DWORD src1_sel:WORD_1
	v_fma_f16 v232, v229, v122, -v232
	v_mul_f16_sdwa v229, v229, v122 dst_sel:DWORD dst_unused:UNUSED_PAD src0_sel:DWORD src1_sel:WORD_1
	v_fma_f16 v131, v131, v122, v229
	v_add_f16_e32 v126, v197, v232
	v_sub_f16_e32 v128, v197, v232
	v_add_f16_e32 v130, v6, v131
	v_sub_f16_e32 v6, v6, v131
	;; [unrolled: 2-line block ×5, first 2 shown]
	v_sub_f16_e32 v228, v221, v224
	v_sub_f16_e32 v230, v3, v1
	;; [unrolled: 1-line block ×4, first 2 shown]
	v_add_f16_e32 v229, v3, v1
	v_sub_f16_e32 v3, v5, v3
	v_add_f16_e32 v231, v2, v0
	v_sub_f16_e32 v2, v4, v2
	v_mul_f16_e32 v228, 0x3a52, v228
	v_mul_f16_e32 v230, 0xb846, v230
	;; [unrolled: 1-line block ×3, first 2 shown]
	v_add_f16_e32 v219, v129, v124
	v_sub_f16_e32 v124, v124, v129
	v_add_f16_e32 v229, v229, v5
	v_add_f16_e32 v231, v231, v4
	v_fma_f16 v234, v224, s12, v228
	v_fma_f16 v235, v3, s7, v230
	;; [unrolled: 1-line block ×3, first 2 shown]
	v_sub_f16_e32 v1, v1, v5
	v_add_f16_e32 v234, v234, v80
	v_fma_f16 v235, v229, s14, v235
	v_fma_f16 v236, v231, s14, v236
	v_add_f16_e32 v242, v124, v125
	v_sub_f16_e32 v0, v0, v4
	v_mul_f16_e32 v4, 0xbb00, v1
	v_add_f16_e32 v237, v236, v233
	v_sub_f16_e32 v238, v234, v235
	v_add_f16_e32 v240, v198, v132
	v_sub_f16_e32 v243, v124, v125
	v_sub_f16_e32 v124, v6, v124
	v_add_f16_e32 v242, v242, v6
	v_fma_f16 v3, v3, s0, v4
	v_mul_f16_e32 v4, 0xbb00, v0
	v_sub_f16_e32 v6, v125, v6
	v_add_f16_e32 v129, v131, v126
	v_pack_b32_f16 v237, v237, v238
	v_sub_f16_e32 v238, v126, v127
	v_sub_f16_e32 v241, v198, v132
	;; [unrolled: 1-line block ×3, first 2 shown]
	v_add_f16_e32 v240, v240, v128
	v_mul_f16_e32 v243, 0xb846, v243
	v_fma_f16 v2, v2, s0, v4
	v_sub_f16_e32 v4, v131, v126
	v_sub_f16_e32 v126, v132, v128
	v_mul_f16_e32 v128, 0xbb00, v6
	v_add_f16_e32 v225, v197, v130
	v_sub_f16_e32 v239, v130, v219
	v_fma_f16 v247, v124, s7, v243
	v_sub_f16_e32 v5, v197, v130
	v_fma_f16 v124, v124, s0, v128
	v_fma_f16 v128, v133, s1, -v227
	v_fma_f16 v130, v137, s1, -v228
	v_add_f16_e32 v129, v127, v129
	v_add_f16_e32 v225, v219, v225
	v_add_f16_e32 v128, v128, v7
	v_add_f16_e32 v130, v130, v80
	v_fma_f16 v3, v229, s14, v3
	v_fma_f16 v2, v231, s14, v2
	v_add_f16_e32 v226, v129, v123
	v_add_f16_sdwa v123, v225, v123 dst_sel:DWORD dst_unused:UNUSED_PAD src0_sel:DWORD src1_sel:WORD_1
	v_sub_f16_e32 v127, v127, v131
	v_mul_f16_e32 v238, 0x3a52, v238
	v_mul_f16_e32 v239, 0x3a52, v239
	;; [unrolled: 1-line block ×3, first 2 shown]
	v_add_f16_e32 v131, v2, v128
	v_sub_f16_e32 v132, v130, v3
	v_sub_f16_e32 v219, v219, v197
	v_fma_f16 v129, v129, s6, v226
	v_fma_f16 v225, v225, s6, v123
	;; [unrolled: 1-line block ×3, first 2 shown]
	v_pack_b32_f16 v131, v131, v132
	v_fma_f16 v132, v4, s1, -v238
	v_fma_f16 v197, v5, s1, -v239
	v_mul_f16_e32 v241, 0xb846, v241
	v_add_f16_e32 v132, v132, v129
	v_add_f16_e32 v197, v197, v225
	v_fma_f16 v125, v240, s14, v125
	v_fma_f16 v124, v242, s14, v124
	;; [unrolled: 1-line block ×3, first 2 shown]
	v_add_f16_e32 v198, v124, v132
	v_sub_f16_e32 v221, v197, v125
	v_pack_b32_f16 v198, v198, v221
	ds_write2_b32 v184, v131, v198 offset0:163 offset1:212
	v_mul_f16_e32 v131, 0x2b26, v218
	v_fma_f16 v244, v127, s12, v238
	v_fma_f16 v131, v133, s13, -v131
	v_mul_f16_e32 v133, 0x2b26, v224
	v_mul_f16_e32 v127, 0x2b26, v127
	v_fma_f16 v133, v137, s13, -v133
	v_fma_f16 v1, v1, s15, -v230
	;; [unrolled: 1-line block ×4, first 2 shown]
	v_mul_f16_e32 v127, 0x2b26, v219
	v_add_f16_e32 v7, v131, v7
	v_add_f16_e32 v80, v133, v80
	v_fma_f16 v1, v229, s14, v1
	v_fma_f16 v0, v231, s14, v0
	v_fma_f16 v5, v5, s13, -v127
	v_fma_f16 v126, v126, s15, -v241
	;; [unrolled: 1-line block ×3, first 2 shown]
	v_add_f16_e32 v244, v244, v129
	v_add_f16_e32 v4, v4, v129
	;; [unrolled: 1-line block ×3, first 2 shown]
	v_fma_f16 v126, v240, s14, v126
	v_fma_f16 v6, v242, s14, v6
	v_sub_f16_e32 v127, v7, v0
	v_add_f16_e32 v129, v1, v80
	v_pack_b32_f16 v127, v127, v129
	v_sub_f16_e32 v129, v4, v6
	v_add_f16_e32 v131, v126, v5
	v_add_f16_e32 v0, v0, v7
	v_sub_f16_e32 v1, v80, v1
	v_add_f16_e32 v4, v6, v4
	v_sub_f16_e32 v5, v5, v126
	v_pack_b32_f16 v0, v0, v1
	v_pack_b32_f16 v1, v4, v5
	v_fma_f16 v245, v219, s12, v239
	ds_write2_b32 v186, v0, v1 offset0:81 offset1:130
	v_sub_f16_e32 v0, v128, v2
	v_add_f16_e32 v1, v3, v130
	v_sub_f16_e32 v2, v132, v124
	v_add_f16_e32 v3, v125, v197
	v_add_f16_e32 v245, v245, v225
	v_fma_f16 v246, v240, s14, v246
	v_fma_f16 v247, v242, s14, v247
	v_pack_b32_f16 v0, v0, v1
	v_pack_b32_f16 v1, v2, v3
	ds_write2_b32 v182, v0, v1 offset0:168 offset1:217
	v_sub_f16_e32 v0, v233, v236
	v_add_f16_e32 v1, v235, v234
	v_sub_f16_e32 v2, v244, v247
	v_add_f16_e32 v3, v246, v245
	v_pack_b32_f16 v0, v0, v1
	v_pack_b32_f16 v1, v2, v3
	v_add_f16_e32 v248, v247, v244
	v_sub_f16_e32 v249, v245, v246
	ds_write2_b32 v11, v0, v1 offset0:127 offset1:176
	v_lshlrev_b32_e32 v0, 16, v123
	v_pack_b32_f16 v248, v248, v249
	v_pack_b32_f16 v129, v129, v131
	v_or_b32_e32 v0, v0, v226
	ds_write2_b32 v185, v237, v248 offset0:76 offset1:125
	ds_write2_b32 v220, v127, v129 offset0:122 offset1:171
	ds_write_b32 v134, v0 offset:1176
	s_waitcnt lgkmcnt(0)
	; wave barrier
	s_waitcnt lgkmcnt(0)
	global_load_dword v125, v[89:90], off offset:1412
	v_add_co_u32_e32 v123, vcc, s2, v200
	v_addc_co_u32_e32 v124, vcc, 0, v201, vcc
	global_load_dword v0, v[123:124], off offset:980
	global_load_dword v1, v[123:124], off offset:1176
	s_movk_i32 s2, 0x4000
	v_add_co_u32_e32 v89, vcc, s2, v200
	v_addc_co_u32_e32 v90, vcc, 0, v201, vcc
	global_load_dword v2, v[89:90], off offset:1452
	global_load_dword v3, v[89:90], off offset:1648
	global_load_dword v4, v[89:90], off offset:1844
	global_load_dword v5, v[89:90], off offset:2040
	global_load_dword v6, v[89:90], off offset:2236
	global_load_dword v7, v[89:90], off offset:2432
	global_load_dword v80, v[89:90], off offset:1256
	global_load_dword v137, v[123:124], off offset:1372
	global_load_dword v197, v[123:124], off offset:196
	global_load_dword v198, v[123:124], off offset:1568
	global_load_dword v218, v[123:124], off offset:2744
	ds_read2_b32 v[126:127], v134 offset1:49
	global_load_dword v219, v[123:124], off offset:2940
	global_load_dword v221, v[123:124], off offset:392
	;; [unrolled: 1-line block ×4, first 2 shown]
	s_movk_i32 s2, 0x3000
	s_waitcnt lgkmcnt(0)
	v_lshrrev_b32_e32 v128, 16, v126
	s_waitcnt vmcnt(17)
	v_mul_f16_sdwa v129, v126, v125 dst_sel:DWORD dst_unused:UNUSED_PAD src0_sel:DWORD src1_sel:WORD_1
	v_fma_f16 v129, v128, v125, v129
	v_mul_f16_sdwa v128, v128, v125 dst_sel:DWORD dst_unused:UNUSED_PAD src0_sel:DWORD src1_sel:WORD_1
	v_fma_f16 v125, v126, v125, -v128
	v_pack_b32_f16 v125, v125, v129
	ds_write_b32 v134, v125
	ds_read2_b32 v[125:126], v134 offset0:196 offset1:245
	ds_read2_b32 v[128:129], v194 offset0:38 offset1:87
	s_waitcnt lgkmcnt(1)
	v_lshrrev_b32_e32 v130, 16, v126
	s_waitcnt vmcnt(16)
	v_mul_f16_sdwa v131, v126, v0 dst_sel:DWORD dst_unused:UNUSED_PAD src0_sel:DWORD src1_sel:WORD_1
	v_fma_f16 v131, v130, v0, v131
	v_mul_f16_sdwa v130, v130, v0 dst_sel:DWORD dst_unused:UNUSED_PAD src0_sel:DWORD src1_sel:WORD_1
	v_fma_f16 v0, v126, v0, -v130
	s_waitcnt lgkmcnt(0)
	v_lshrrev_b32_e32 v126, 16, v128
	s_waitcnt vmcnt(15)
	v_mul_f16_sdwa v130, v128, v1 dst_sel:DWORD dst_unused:UNUSED_PAD src0_sel:DWORD src1_sel:WORD_1
	v_pack_b32_f16 v0, v0, v131
	v_fma_f16 v132, v126, v1, v130
	ds_read2_b32 v[130:131], v183 offset0:10 offset1:59
	v_mul_f16_sdwa v126, v126, v1 dst_sel:DWORD dst_unused:UNUSED_PAD src0_sel:DWORD src1_sel:WORD_1
	v_fma_f16 v1, v128, v1, -v126
	v_pack_b32_f16 v1, v1, v132
	ds_read2_b32 v[132:133], v182 offset0:168 offset1:217
	v_add_u32_e32 v126, 0x200, v134
	ds_write2_b32 v126, v0, v1 offset0:117 offset1:166
	s_waitcnt lgkmcnt(2)
	v_lshrrev_b32_e32 v0, 16, v130
	s_waitcnt vmcnt(14)
	v_mul_f16_sdwa v1, v130, v2 dst_sel:DWORD dst_unused:UNUSED_PAD src0_sel:DWORD src1_sel:WORD_1
	v_fma_f16 v1, v0, v2, v1
	v_mul_f16_sdwa v0, v0, v2 dst_sel:DWORD dst_unused:UNUSED_PAD src0_sel:DWORD src1_sel:WORD_1
	v_fma_f16 v0, v130, v2, -v0
	v_pack_b32_f16 v0, v0, v1
	s_waitcnt lgkmcnt(1)
	v_lshrrev_b32_e32 v1, 16, v133
	s_waitcnt vmcnt(8)
	v_mul_f16_sdwa v126, v133, v80 dst_sel:DWORD dst_unused:UNUSED_PAD src0_sel:DWORD src1_sel:WORD_1
	v_fma_f16 v126, v1, v80, v126
	v_mul_f16_sdwa v1, v1, v80 dst_sel:DWORD dst_unused:UNUSED_PAD src0_sel:DWORD src1_sel:WORD_1
	v_fma_f16 v1, v133, v80, -v1
	v_pack_b32_f16 v1, v1, v126
	v_add_u32_e32 v80, 0x1e00, v134
	ds_write2_b32 v80, v1, v0 offset0:89 offset1:138
	v_lshrrev_b32_e32 v0, 16, v129
	s_waitcnt vmcnt(7)
	v_mul_f16_sdwa v1, v0, v137 dst_sel:DWORD dst_unused:UNUSED_PAD src0_sel:DWORD src1_sel:WORD_1
	v_fma_f16 v1, v129, v137, -v1
	v_mul_f16_sdwa v80, v129, v137 dst_sel:DWORD dst_unused:UNUSED_PAD src0_sel:DWORD src1_sel:WORD_1
	ds_read2_b32 v[128:129], v194 offset0:136 offset1:185
	v_fma_f16 v0, v0, v137, v80
	v_lshrrev_b32_e32 v80, 16, v127
	s_waitcnt vmcnt(6)
	v_mul_f16_sdwa v126, v80, v197 dst_sel:DWORD dst_unused:UNUSED_PAD src0_sel:DWORD src1_sel:WORD_1
	v_fma_f16 v130, v127, v197, -v126
	v_mul_f16_sdwa v126, v127, v197 dst_sel:DWORD dst_unused:UNUSED_PAD src0_sel:DWORD src1_sel:WORD_1
	v_fma_f16 v80, v80, v197, v126
	v_pack_b32_f16 v0, v1, v0
	s_waitcnt lgkmcnt(0)
	v_lshrrev_b32_e32 v1, 16, v128
	s_waitcnt vmcnt(5)
	v_mul_f16_sdwa v126, v128, v198 dst_sel:DWORD dst_unused:UNUSED_PAD src0_sel:DWORD src1_sel:WORD_1
	global_load_dword v2, v[89:90], off offset:1060
	global_load_dword v133, v[123:124], off offset:1764
	;; [unrolled: 1-line block ×6, first 2 shown]
	v_fma_f16 v197, v1, v198, v126
	ds_read2_b32 v[126:127], v185 offset0:174 offset1:223
	v_mul_f16_sdwa v1, v1, v198 dst_sel:DWORD dst_unused:UNUSED_PAD src0_sel:DWORD src1_sel:WORD_1
	v_fma_f16 v1, v128, v198, -v1
	v_pack_b32_f16 v1, v1, v197
	ds_write2_b32 v194, v0, v1 offset0:87 offset1:136
	s_waitcnt lgkmcnt(1)
	v_lshrrev_b32_e32 v0, 16, v126
	s_waitcnt vmcnt(10)
	v_mul_f16_sdwa v1, v126, v218 dst_sel:DWORD dst_unused:UNUSED_PAD src0_sel:DWORD src1_sel:WORD_1
	v_fma_f16 v1, v0, v218, v1
	v_mul_f16_sdwa v0, v0, v218 dst_sel:DWORD dst_unused:UNUSED_PAD src0_sel:DWORD src1_sel:WORD_1
	v_lshrrev_b32_e32 v128, 16, v127
	v_fma_f16 v0, v126, v218, -v0
	s_waitcnt vmcnt(9)
	v_mul_f16_sdwa v126, v128, v219 dst_sel:DWORD dst_unused:UNUSED_PAD src0_sel:DWORD src1_sel:WORD_1
	v_fma_f16 v218, v127, v219, -v126
	v_add_co_u32_e32 v126, vcc, s2, v200
	v_mul_f16_sdwa v197, v127, v219 dst_sel:DWORD dst_unused:UNUSED_PAD src0_sel:DWORD src1_sel:WORD_1
	v_addc_co_u32_e32 v127, vcc, 0, v201, vcc
	global_load_dword v200, v[126:127], off offset:1432
	v_fma_f16 v128, v128, v219, v197
	global_load_dword v219, v[126:127], off offset:1628
	ds_read2_b32 v[197:198], v10 offset0:84 offset1:133
	global_load_dword v231, v[126:127], off offset:1824
	global_load_dword v232, v[123:124], off offset:3920
	v_pack_b32_f16 v80, v130, v80
	v_pack_b32_f16 v128, v218, v128
	;; [unrolled: 1-line block ×3, first 2 shown]
	s_waitcnt lgkmcnt(0)
	v_lshrrev_b32_e32 v201, 16, v198
	s_mov_b32 s2, 0xb70e
	s_waitcnt vmcnt(3)
	v_mul_f16_sdwa v224, v198, v200 dst_sel:DWORD dst_unused:UNUSED_PAD src0_sel:DWORD src1_sel:WORD_1
	v_fma_f16 v224, v201, v200, v224
	v_mul_f16_sdwa v201, v201, v200 dst_sel:DWORD dst_unused:UNUSED_PAD src0_sel:DWORD src1_sel:WORD_1
	v_fma_f16 v198, v198, v200, -v201
	ds_read2_b32 v[200:201], v187 offset0:54 offset1:103
	v_pack_b32_f16 v198, v198, v224
	s_waitcnt lgkmcnt(0)
	v_lshrrev_b32_e32 v224, 16, v200
	s_waitcnt vmcnt(2)
	v_mul_f16_sdwa v225, v200, v219 dst_sel:DWORD dst_unused:UNUSED_PAD src0_sel:DWORD src1_sel:WORD_1
	v_fma_f16 v225, v224, v219, v225
	v_mul_f16_sdwa v224, v224, v219 dst_sel:DWORD dst_unused:UNUSED_PAD src0_sel:DWORD src1_sel:WORD_1
	v_fma_f16 v200, v200, v219, -v224
	v_pack_b32_f16 v200, v200, v225
	ds_write2_b32 v187, v198, v200 offset0:5 offset1:54
	global_load_dword v198, v[126:127], off offset:2804
	global_load_dword v200, v[126:127], off offset:3000
	ds_read2_b32 v[224:225], v188 offset0:92 offset1:141
	global_load_dword v233, v[126:127], off offset:3196
	global_load_dword v234, v[126:127], off offset:3392
	;; [unrolled: 1-line block ×3, first 2 shown]
	s_waitcnt lgkmcnt(0)
	v_lshrrev_b32_e32 v219, 16, v224
	s_waitcnt vmcnt(4)
	v_mul_f16_sdwa v226, v224, v198 dst_sel:DWORD dst_unused:UNUSED_PAD src0_sel:DWORD src1_sel:WORD_1
	v_fma_f16 v236, v219, v198, v226
	v_mul_f16_sdwa v219, v219, v198 dst_sel:DWORD dst_unused:UNUSED_PAD src0_sel:DWORD src1_sel:WORD_1
	v_fma_f16 v198, v224, v198, -v219
	v_lshrrev_b32_e32 v219, 16, v225
	s_waitcnt vmcnt(3)
	v_mul_f16_sdwa v224, v219, v200 dst_sel:DWORD dst_unused:UNUSED_PAD src0_sel:DWORD src1_sel:WORD_1
	v_fma_f16 v237, v225, v200, -v224
	v_mul_f16_sdwa v224, v225, v200 dst_sel:DWORD dst_unused:UNUSED_PAD src0_sel:DWORD src1_sel:WORD_1
	v_fma_f16 v200, v219, v200, v224
	global_load_dword v219, v[89:90], off offset:80
	global_load_dword v238, v[89:90], off offset:276
	ds_read2_b32 v[224:225], v186 offset0:130 offset1:179
	global_load_dword v239, v[89:90], off offset:472
	global_load_dword v240, v[89:90], off offset:668
	;; [unrolled: 1-line block ×4, first 2 shown]
	v_pack_b32_f16 v200, v237, v200
	s_waitcnt lgkmcnt(0)
	v_lshrrev_b32_e32 v226, 16, v225
	s_waitcnt vmcnt(5)
	v_mul_f16_sdwa v243, v225, v219 dst_sel:DWORD dst_unused:UNUSED_PAD src0_sel:DWORD src1_sel:WORD_1
	v_fma_f16 v243, v226, v219, v243
	v_mul_f16_sdwa v226, v226, v219 dst_sel:DWORD dst_unused:UNUSED_PAD src0_sel:DWORD src1_sel:WORD_1
	v_fma_f16 v219, v225, v219, -v226
	ds_read2_b32 v[225:226], v189 offset0:100 offset1:149
	v_pack_b32_f16 v219, v219, v243
	s_waitcnt lgkmcnt(0)
	v_lshrrev_b32_e32 v243, 16, v225
	s_waitcnt vmcnt(4)
	v_mul_f16_sdwa v244, v225, v238 dst_sel:DWORD dst_unused:UNUSED_PAD src0_sel:DWORD src1_sel:WORD_1
	v_fma_f16 v244, v243, v238, v244
	v_mul_f16_sdwa v243, v243, v238 dst_sel:DWORD dst_unused:UNUSED_PAD src0_sel:DWORD src1_sel:WORD_1
	v_fma_f16 v225, v225, v238, -v243
	v_pack_b32_f16 v225, v225, v244
	ds_write2_b32 v186, v219, v225 offset0:179 offset1:228
	v_lshrrev_b32_e32 v219, 16, v131
	v_mul_f16_sdwa v225, v219, v3 dst_sel:DWORD dst_unused:UNUSED_PAD src0_sel:DWORD src1_sel:WORD_1
	v_fma_f16 v225, v131, v3, -v225
	v_mul_f16_sdwa v131, v131, v3 dst_sel:DWORD dst_unused:UNUSED_PAD src0_sel:DWORD src1_sel:WORD_1
	v_fma_f16 v3, v219, v3, v131
	ds_read2_b32 v[130:131], v134 offset0:98 offset1:147
	v_pack_b32_f16 v3, v225, v3
	s_waitcnt lgkmcnt(0)
	v_lshrrev_b32_e32 v219, 16, v130
	v_mul_f16_sdwa v238, v130, v221 dst_sel:DWORD dst_unused:UNUSED_PAD src0_sel:DWORD src1_sel:WORD_1
	v_fma_f16 v238, v219, v221, v238
	v_mul_f16_sdwa v219, v219, v221 dst_sel:DWORD dst_unused:UNUSED_PAD src0_sel:DWORD src1_sel:WORD_1
	v_fma_f16 v130, v130, v221, -v219
	v_pack_b32_f16 v130, v130, v238
	ds_write2_b32 v134, v80, v130 offset0:49 offset1:98
	v_lshrrev_b32_e32 v80, 16, v129
	v_mul_f16_sdwa v130, v80, v133 dst_sel:DWORD dst_unused:UNUSED_PAD src0_sel:DWORD src1_sel:WORD_1
	v_fma_f16 v130, v129, v133, -v130
	v_mul_f16_sdwa v129, v129, v133 dst_sel:DWORD dst_unused:UNUSED_PAD src0_sel:DWORD src1_sel:WORD_1
	v_fma_f16 v80, v80, v133, v129
	global_load_dword v129, v[123:124], off offset:3136
	global_load_dword v133, v[123:124], off offset:3332
	;; [unrolled: 1-line block ×4, first 2 shown]
	ds_read2_b32 v[123:124], v184 offset0:16 offset1:65
	v_pack_b32_f16 v80, v130, v80
	s_waitcnt lgkmcnt(0)
	v_lshrrev_b32_e32 v218, 16, v123
	s_waitcnt vmcnt(3)
	v_mul_f16_sdwa v238, v123, v129 dst_sel:DWORD dst_unused:UNUSED_PAD src0_sel:DWORD src1_sel:WORD_1
	v_fma_f16 v238, v218, v129, v238
	v_mul_f16_sdwa v218, v218, v129 dst_sel:DWORD dst_unused:UNUSED_PAD src0_sel:DWORD src1_sel:WORD_1
	v_fma_f16 v123, v123, v129, -v218
	v_pack_b32_f16 v123, v123, v238
	ds_write2_b32 v16, v128, v123 offset0:95 offset1:144
	v_lshrrev_b32_e32 v123, 16, v201
	v_mul_f16_sdwa v128, v123, v231 dst_sel:DWORD dst_unused:UNUSED_PAD src0_sel:DWORD src1_sel:WORD_1
	v_fma_f16 v218, v201, v231, -v128
	v_mul_f16_sdwa v128, v201, v231 dst_sel:DWORD dst_unused:UNUSED_PAD src0_sel:DWORD src1_sel:WORD_1
	v_fma_f16 v123, v123, v231, v128
	ds_read2_b32 v[128:129], v188 offset0:190 offset1:239
	s_waitcnt lgkmcnt(0)
	v_lshrrev_b32_e32 v201, 16, v128
	v_mul_f16_sdwa v231, v128, v233 dst_sel:DWORD dst_unused:UNUSED_PAD src0_sel:DWORD src1_sel:WORD_1
	v_fma_f16 v231, v201, v233, v231
	v_mul_f16_sdwa v201, v201, v233 dst_sel:DWORD dst_unused:UNUSED_PAD src0_sel:DWORD src1_sel:WORD_1
	v_fma_f16 v128, v128, v233, -v201
	v_pack_b32_f16 v128, v128, v231
	ds_write2_b32 v188, v200, v128 offset0:141 offset1:190
	v_lshrrev_b32_e32 v128, 16, v226
	v_mul_f16_sdwa v200, v128, v239 dst_sel:DWORD dst_unused:UNUSED_PAD src0_sel:DWORD src1_sel:WORD_1
	v_fma_f16 v231, v226, v239, -v200
	v_mul_f16_sdwa v200, v226, v239 dst_sel:DWORD dst_unused:UNUSED_PAD src0_sel:DWORD src1_sel:WORD_1
	v_fma_f16 v128, v128, v239, v200
	ds_read2_b32 v[200:201], v183 offset0:108 offset1:157
	s_waitcnt lgkmcnt(0)
	v_lshrrev_b32_e32 v225, 16, v200
	v_mul_f16_sdwa v226, v200, v4 dst_sel:DWORD dst_unused:UNUSED_PAD src0_sel:DWORD src1_sel:WORD_1
	v_fma_f16 v226, v225, v4, v226
	v_mul_f16_sdwa v225, v225, v4 dst_sel:DWORD dst_unused:UNUSED_PAD src0_sel:DWORD src1_sel:WORD_1
	v_fma_f16 v4, v200, v4, -v225
	v_pack_b32_f16 v4, v4, v226
	ds_write2_b32 v183, v3, v4 offset0:59 offset1:108
	v_lshrrev_b32_e32 v3, 16, v131
	v_mul_f16_sdwa v4, v3, v222 dst_sel:DWORD dst_unused:UNUSED_PAD src0_sel:DWORD src1_sel:WORD_1
	v_fma_f16 v4, v131, v222, -v4
	v_mul_f16_sdwa v131, v131, v222 dst_sel:DWORD dst_unused:UNUSED_PAD src0_sel:DWORD src1_sel:WORD_1
	v_fma_f16 v3, v3, v222, v131
	ds_read2_b32 v[130:131], v213 offset0:106 offset1:155
	v_pack_b32_f16 v3, v4, v3
	s_waitcnt lgkmcnt(0)
	v_lshrrev_b32_e32 v200, 16, v130
	v_mul_f16_sdwa v222, v130, v137 dst_sel:DWORD dst_unused:UNUSED_PAD src0_sel:DWORD src1_sel:WORD_1
	v_fma_f16 v222, v200, v137, v222
	v_mul_f16_sdwa v200, v200, v137 dst_sel:DWORD dst_unused:UNUSED_PAD src0_sel:DWORD src1_sel:WORD_1
	v_fma_f16 v130, v130, v137, -v200
	v_pack_b32_f16 v130, v130, v222
	ds_write2_b32 v194, v80, v130 offset0:185 offset1:234
	v_lshrrev_b32_e32 v80, 16, v124
	s_waitcnt vmcnt(2)
	v_mul_f16_sdwa v130, v80, v133 dst_sel:DWORD dst_unused:UNUSED_PAD src0_sel:DWORD src1_sel:WORD_1
	v_fma_f16 v130, v124, v133, -v130
	v_mul_f16_sdwa v124, v124, v133 dst_sel:DWORD dst_unused:UNUSED_PAD src0_sel:DWORD src1_sel:WORD_1
	v_fma_f16 v80, v80, v133, v124
	v_pack_b32_f16 v133, v218, v123
	global_load_dword v137, v[126:127], off offset:2020
	global_load_dword v200, v[126:127], off offset:2216
	;; [unrolled: 1-line block ×3, first 2 shown]
	ds_read2_b32 v[123:124], v187 offset0:152 offset1:201
	v_pack_b32_f16 v80, v130, v80
	s_waitcnt lgkmcnt(0)
	v_lshrrev_b32_e32 v222, 16, v123
	s_waitcnt vmcnt(2)
	v_mul_f16_sdwa v225, v123, v137 dst_sel:DWORD dst_unused:UNUSED_PAD src0_sel:DWORD src1_sel:WORD_1
	v_fma_f16 v225, v222, v137, v225
	v_mul_f16_sdwa v222, v222, v137 dst_sel:DWORD dst_unused:UNUSED_PAD src0_sel:DWORD src1_sel:WORD_1
	v_fma_f16 v123, v123, v137, -v222
	v_pack_b32_f16 v123, v123, v225
	ds_write2_b32 v187, v133, v123 offset0:103 offset1:152
	v_lshrrev_b32_e32 v123, 16, v129
	v_mul_f16_sdwa v133, v123, v234 dst_sel:DWORD dst_unused:UNUSED_PAD src0_sel:DWORD src1_sel:WORD_1
	v_fma_f16 v133, v129, v234, -v133
	v_mul_f16_sdwa v129, v129, v234 dst_sel:DWORD dst_unused:UNUSED_PAD src0_sel:DWORD src1_sel:WORD_1
	v_fma_f16 v123, v123, v234, v129
	v_pack_b32_f16 v137, v231, v128
	ds_read2_b32 v[128:129], v182 offset0:70 offset1:119
	s_waitcnt lgkmcnt(0)
	v_lshrrev_b32_e32 v222, 16, v128
	v_mul_f16_sdwa v225, v128, v240 dst_sel:DWORD dst_unused:UNUSED_PAD src0_sel:DWORD src1_sel:WORD_1
	v_fma_f16 v225, v222, v240, v225
	v_mul_f16_sdwa v222, v222, v240 dst_sel:DWORD dst_unused:UNUSED_PAD src0_sel:DWORD src1_sel:WORD_1
	v_fma_f16 v128, v128, v240, -v222
	v_pack_b32_f16 v128, v128, v225
	ds_write2_b32 v182, v137, v128 offset0:21 offset1:70
	v_lshrrev_b32_e32 v128, 16, v201
	v_mul_f16_sdwa v137, v128, v5 dst_sel:DWORD dst_unused:UNUSED_PAD src0_sel:DWORD src1_sel:WORD_1
	v_fma_f16 v137, v201, v5, -v137
	v_mul_f16_sdwa v201, v201, v5 dst_sel:DWORD dst_unused:UNUSED_PAD src0_sel:DWORD src1_sel:WORD_1
	v_fma_f16 v5, v128, v5, v201
	v_lshrrev_b32_e32 v128, 16, v125
	v_mul_f16_sdwa v201, v128, v227 dst_sel:DWORD dst_unused:UNUSED_PAD src0_sel:DWORD src1_sel:WORD_1
	v_fma_f16 v201, v125, v227, -v201
	v_mul_f16_sdwa v125, v125, v227 dst_sel:DWORD dst_unused:UNUSED_PAD src0_sel:DWORD src1_sel:WORD_1
	v_fma_f16 v125, v128, v227, v125
	v_pack_b32_f16 v4, v201, v125
	ds_write2_b32 v134, v3, v4 offset0:147 offset1:196
	v_lshrrev_b32_e32 v3, 16, v131
	v_mul_f16_sdwa v4, v3, v228 dst_sel:DWORD dst_unused:UNUSED_PAD src0_sel:DWORD src1_sel:WORD_1
	v_fma_f16 v4, v131, v228, -v4
	v_mul_f16_sdwa v125, v131, v228 dst_sel:DWORD dst_unused:UNUSED_PAD src0_sel:DWORD src1_sel:WORD_1
	ds_read2_b32 v[130:131], v184 offset0:114 offset1:163
	v_fma_f16 v3, v3, v228, v125
	v_pack_b32_f16 v5, v137, v5
	v_pack_b32_f16 v3, v4, v3
	s_waitcnt lgkmcnt(0)
	v_lshrrev_b32_e32 v125, 16, v130
	v_mul_f16_sdwa v128, v130, v219 dst_sel:DWORD dst_unused:UNUSED_PAD src0_sel:DWORD src1_sel:WORD_1
	v_fma_f16 v128, v125, v219, v128
	v_mul_f16_sdwa v125, v125, v219 dst_sel:DWORD dst_unused:UNUSED_PAD src0_sel:DWORD src1_sel:WORD_1
	v_fma_f16 v125, v130, v219, -v125
	v_pack_b32_f16 v125, v125, v128
	ds_write2_b32 v184, v80, v125 offset0:65 offset1:114
	v_lshrrev_b32_e32 v80, 16, v124
	s_waitcnt vmcnt(1)
	v_mul_f16_sdwa v125, v80, v200 dst_sel:DWORD dst_unused:UNUSED_PAD src0_sel:DWORD src1_sel:WORD_1
	v_fma_f16 v130, v124, v200, -v125
	v_mul_f16_sdwa v124, v124, v200 dst_sel:DWORD dst_unused:UNUSED_PAD src0_sel:DWORD src1_sel:WORD_1
	v_fma_f16 v80, v80, v200, v124
	global_load_dword v125, v[126:127], off offset:3588
	global_load_dword v200, v[126:127], off offset:3784
	v_pack_b32_f16 v126, v133, v123
	ds_read2_b32 v[123:124], v186 offset0:32 offset1:81
	s_waitcnt lgkmcnt(0)
	v_lshrrev_b32_e32 v127, 16, v123
	s_waitcnt vmcnt(1)
	v_mul_f16_sdwa v128, v123, v125 dst_sel:DWORD dst_unused:UNUSED_PAD src0_sel:DWORD src1_sel:WORD_1
	v_fma_f16 v128, v127, v125, v128
	v_mul_f16_sdwa v127, v127, v125 dst_sel:DWORD dst_unused:UNUSED_PAD src0_sel:DWORD src1_sel:WORD_1
	v_fma_f16 v123, v123, v125, -v127
	v_pack_b32_f16 v123, v123, v128
	ds_write2_b32 v8, v126, v123 offset0:111 offset1:160
	v_lshrrev_b32_e32 v123, 16, v129
	v_mul_f16_sdwa v125, v123, v241 dst_sel:DWORD dst_unused:UNUSED_PAD src0_sel:DWORD src1_sel:WORD_1
	v_fma_f16 v133, v129, v241, -v125
	v_mul_f16_sdwa v125, v129, v241 dst_sel:DWORD dst_unused:UNUSED_PAD src0_sel:DWORD src1_sel:WORD_1
	v_fma_f16 v123, v123, v241, v125
	ds_read2_b32 v[125:126], v183 offset0:206 offset1:255
	s_waitcnt lgkmcnt(0)
	v_lshrrev_b32_e32 v127, 16, v125
	v_mul_f16_sdwa v128, v125, v6 dst_sel:DWORD dst_unused:UNUSED_PAD src0_sel:DWORD src1_sel:WORD_1
	v_fma_f16 v128, v127, v6, v128
	v_mul_f16_sdwa v127, v127, v6 dst_sel:DWORD dst_unused:UNUSED_PAD src0_sel:DWORD src1_sel:WORD_1
	v_fma_f16 v6, v125, v6, -v127
	global_load_dword v125, v[89:90], off offset:2628
	ds_read2_b32 v[89:90], v185 offset0:76 offset1:125
	v_pack_b32_f16 v6, v6, v128
	ds_write2_b32 v183, v5, v6 offset0:157 offset1:206
	ds_read2_b32 v[127:128], v220 offset0:122 offset1:171
	s_waitcnt lgkmcnt(2)
	v_lshrrev_b32_e32 v4, 16, v89
	v_mul_f16_sdwa v5, v89, v229 dst_sel:DWORD dst_unused:UNUSED_PAD src0_sel:DWORD src1_sel:WORD_1
	v_fma_f16 v5, v4, v229, v5
	v_mul_f16_sdwa v4, v4, v229 dst_sel:DWORD dst_unused:UNUSED_PAD src0_sel:DWORD src1_sel:WORD_1
	v_fma_f16 v4, v89, v229, -v4
	v_pack_b32_f16 v4, v4, v5
	ds_write2_b32 v185, v3, v4 offset0:27 offset1:76
	v_lshrrev_b32_e32 v3, 16, v131
	v_mul_f16_sdwa v5, v131, v221 dst_sel:DWORD dst_unused:UNUSED_PAD src0_sel:DWORD src1_sel:WORD_1
	v_mul_f16_sdwa v4, v3, v221 dst_sel:DWORD dst_unused:UNUSED_PAD src0_sel:DWORD src1_sel:WORD_1
	v_fma_f16 v3, v3, v221, v5
	v_pack_b32_f16 v5, v130, v80
	s_waitcnt lgkmcnt(1)
	v_lshrrev_b32_e32 v6, 16, v127
	v_mul_f16_sdwa v80, v127, v218 dst_sel:DWORD dst_unused:UNUSED_PAD src0_sel:DWORD src1_sel:WORD_1
	v_fma_f16 v80, v6, v218, v80
	v_mul_f16_sdwa v6, v6, v218 dst_sel:DWORD dst_unused:UNUSED_PAD src0_sel:DWORD src1_sel:WORD_1
	v_fma_f16 v6, v127, v218, -v6
	v_pack_b32_f16 v6, v6, v80
	ds_write2_b32 v187, v5, v6 offset0:201 offset1:250
	v_lshrrev_b32_e32 v5, 16, v124
	s_waitcnt vmcnt(1)
	v_mul_f16_sdwa v80, v124, v200 dst_sel:DWORD dst_unused:UNUSED_PAD src0_sel:DWORD src1_sel:WORD_1
	v_mul_f16_sdwa v6, v5, v200 dst_sel:DWORD dst_unused:UNUSED_PAD src0_sel:DWORD src1_sel:WORD_1
	v_fma_f16 v5, v5, v200, v80
	v_lshrrev_b32_e32 v80, 16, v132
	v_fma_f16 v6, v124, v200, -v6
	v_mul_f16_sdwa v89, v80, v2 dst_sel:DWORD dst_unused:UNUSED_PAD src0_sel:DWORD src1_sel:WORD_1
	v_mul_f16_sdwa v124, v132, v2 dst_sel:DWORD dst_unused:UNUSED_PAD src0_sel:DWORD src1_sel:WORD_1
	v_fma_f16 v89, v132, v2, -v89
	v_fma_f16 v2, v80, v2, v124
	v_pack_b32_f16 v80, v133, v123
	v_pack_b32_f16 v2, v89, v2
	ds_write2_b32 v182, v80, v2 offset0:119 offset1:168
	v_lshrrev_b32_e32 v2, 16, v126
	v_mul_f16_sdwa v80, v2, v7 dst_sel:DWORD dst_unused:UNUSED_PAD src0_sel:DWORD src1_sel:WORD_1
	v_mul_f16_sdwa v89, v126, v7 dst_sel:DWORD dst_unused:UNUSED_PAD src0_sel:DWORD src1_sel:WORD_1
	v_fma_f16 v80, v126, v7, -v80
	v_fma_f16 v2, v2, v7, v89
	v_lshrrev_b32_e32 v7, 16, v90
	v_mul_f16_sdwa v89, v7, v230 dst_sel:DWORD dst_unused:UNUSED_PAD src0_sel:DWORD src1_sel:WORD_1
	v_fma_f16 v89, v90, v230, -v89
	v_mul_f16_sdwa v90, v90, v230 dst_sel:DWORD dst_unused:UNUSED_PAD src0_sel:DWORD src1_sel:WORD_1
	v_fma_f16 v7, v7, v230, v90
	v_pack_b32_f16 v1, v89, v7
	ds_write2_b32 v185, v1, v0 offset0:125 offset1:174
	v_lshrrev_b32_e32 v0, 16, v197
	v_mul_f16_sdwa v1, v0, v232 dst_sel:DWORD dst_unused:UNUSED_PAD src0_sel:DWORD src1_sel:WORD_1
	v_mul_f16_sdwa v7, v197, v232 dst_sel:DWORD dst_unused:UNUSED_PAD src0_sel:DWORD src1_sel:WORD_1
	v_fma_f16 v4, v131, v221, -v4
	v_fma_f16 v1, v197, v232, -v1
	v_fma_f16 v0, v0, v232, v7
	v_pack_b32_f16 v3, v4, v3
	v_pack_b32_f16 v0, v1, v0
	ds_write2_b32 v184, v3, v0 offset0:163 offset1:212
	v_lshrrev_b32_e32 v0, 16, v128
	v_mul_f16_sdwa v1, v0, v235 dst_sel:DWORD dst_unused:UNUSED_PAD src0_sel:DWORD src1_sel:WORD_1
	v_mul_f16_sdwa v3, v128, v235 dst_sel:DWORD dst_unused:UNUSED_PAD src0_sel:DWORD src1_sel:WORD_1
	v_fma_f16 v1, v128, v235, -v1
	v_fma_f16 v0, v0, v235, v3
	v_pack_b32_f16 v3, v198, v236
	v_pack_b32_f16 v0, v1, v0
	ds_read_b32 v4, v134 offset:9408
	ds_write2_b32 v188, v0, v3 offset0:43 offset1:92
	v_lshrrev_b32_e32 v0, 16, v224
	v_mul_f16_sdwa v1, v0, v242 dst_sel:DWORD dst_unused:UNUSED_PAD src0_sel:DWORD src1_sel:WORD_1
	v_mul_f16_sdwa v3, v224, v242 dst_sel:DWORD dst_unused:UNUSED_PAD src0_sel:DWORD src1_sel:WORD_1
	v_fma_f16 v1, v224, v242, -v1
	v_fma_f16 v0, v0, v242, v3
	v_pack_b32_f16 v3, v6, v5
	v_pack_b32_f16 v0, v1, v0
	ds_write2_b32 v186, v3, v0 offset0:81 offset1:130
	s_waitcnt lgkmcnt(2)
	v_lshrrev_b32_e32 v0, 16, v4
	v_pack_b32_f16 v2, v80, v2
	s_waitcnt vmcnt(0)
	v_mul_f16_sdwa v1, v0, v125 dst_sel:DWORD dst_unused:UNUSED_PAD src0_sel:DWORD src1_sel:WORD_1
	v_mul_f16_sdwa v3, v4, v125 dst_sel:DWORD dst_unused:UNUSED_PAD src0_sel:DWORD src1_sel:WORD_1
	v_fma_f16 v1, v4, v125, -v1
	v_fma_f16 v0, v0, v125, v3
	v_pack_b32_f16 v0, v1, v0
	ds_write2_b32 v11, v2, v0 offset0:127 offset1:176
	s_waitcnt lgkmcnt(0)
	; wave barrier
	s_waitcnt lgkmcnt(0)
	ds_read2_b32 v[124:125], v185 offset0:174 offset1:223
	ds_read2_b32 v[89:90], v186 offset0:130 offset1:179
	ds_read2_b32 v[128:129], v189 offset0:100 offset1:149
	ds_read2_b32 v[131:132], v184 offset0:16 offset1:65
	ds_read2_b32 v[197:198], v182 offset0:70 offset1:119
	ds_read2_b32 v[224:225], v184 offset0:114 offset1:163
	ds_read2_b32 v[239:240], v182 offset0:168 offset1:217
	s_waitcnt lgkmcnt(5)
	v_add_f16_e32 v251, v124, v90
	v_add_f16_sdwa v250, v124, v90 dst_sel:DWORD dst_unused:UNUSED_PAD src0_sel:WORD_1 src1_sel:WORD_1
	v_sub_f16_e32 v255, v124, v90
	v_sub_f16_sdwa v254, v124, v90 dst_sel:DWORD dst_unused:UNUSED_PAD src0_sel:WORD_1 src1_sel:WORD_1
	s_waitcnt lgkmcnt(4)
	v_add_f16_e32 v126, v125, v128
	v_add_f16_sdwa v127, v125, v128 dst_sel:DWORD dst_unused:UNUSED_PAD src0_sel:WORD_1 src1_sel:WORD_1
	v_sub_f16_e32 v124, v125, v128
	v_sub_f16_sdwa v123, v125, v128 dst_sel:DWORD dst_unused:UNUSED_PAD src0_sel:WORD_1 src1_sel:WORD_1
	;; [unrolled: 5-line block ×5, first 2 shown]
	s_waitcnt lgkmcnt(0)
	v_add_f16_e32 v235, v225, v239
	ds_read2_b32 v[197:198], v10 offset0:84 offset1:133
	v_add_f16_sdwa v236, v225, v239 dst_sel:DWORD dst_unused:UNUSED_PAD src0_sel:WORD_1 src1_sel:WORD_1
	v_sub_f16_e32 v232, v225, v239
	v_sub_f16_sdwa v230, v225, v239 dst_sel:DWORD dst_unused:UNUSED_PAD src0_sel:WORD_1 src1_sel:WORD_1
	ds_read2_b32 v[224:225], v188 offset0:92 offset1:141
	s_waitcnt lgkmcnt(1)
	v_add_f16_e32 v239, v197, v240
	v_add_f16_sdwa v238, v197, v240 dst_sel:DWORD dst_unused:UNUSED_PAD src0_sel:WORD_1 src1_sel:WORD_1
	v_sub_f16_e32 v237, v197, v240
	v_sub_f16_sdwa v233, v197, v240 dst_sel:DWORD dst_unused:UNUSED_PAD src0_sel:WORD_1 src1_sel:WORD_1
	s_waitcnt lgkmcnt(0)
	v_add_f16_e32 v2, v198, v224
	v_add_f16_sdwa v3, v198, v224 dst_sel:DWORD dst_unused:UNUSED_PAD src0_sel:WORD_1 src1_sel:WORD_1
	v_sub_f16_e32 v4, v224, v198
	v_sub_f16_sdwa v5, v224, v198 dst_sel:DWORD dst_unused:UNUSED_PAD src0_sel:WORD_1 src1_sel:WORD_1
	ds_read2_b32 v[197:198], v187 offset0:54 offset1:103
	ds_read2_b32 v[240:241], v220 offset0:122 offset1:171
	v_sub_f16_e32 v10, v2, v251
	v_sub_f16_e32 v30, v3, v250
	s_waitcnt lgkmcnt(1)
	v_add_f16_e32 v11, v197, v225
	v_add_f16_sdwa v16, v197, v225 dst_sel:DWORD dst_unused:UNUSED_PAD src0_sel:WORD_1 src1_sel:WORD_1
	v_sub_f16_e32 v17, v225, v197
	v_sub_f16_sdwa v18, v225, v197 dst_sel:DWORD dst_unused:UNUSED_PAD src0_sel:WORD_1 src1_sel:WORD_1
	ds_read2_b32 v[224:225], v188 offset0:190 offset1:239
	s_waitcnt lgkmcnt(1)
	v_add_f16_e32 v245, v241, v89
	v_add_f16_sdwa v243, v241, v89 dst_sel:DWORD dst_unused:UNUSED_PAD src0_sel:WORD_1 src1_sel:WORD_1
	v_sub_f16_e32 v242, v89, v241
	s_waitcnt lgkmcnt(0)
	v_add_f16_e32 v137, v198, v224
	v_add_f16_sdwa v219, v198, v224 dst_sel:DWORD dst_unused:UNUSED_PAD src0_sel:WORD_1 src1_sel:WORD_1
	v_sub_f16_e32 v222, v224, v198
	v_sub_f16_sdwa v227, v224, v198 dst_sel:DWORD dst_unused:UNUSED_PAD src0_sel:WORD_1 src1_sel:WORD_1
	ds_read2_b32 v[197:198], v187 offset0:152 offset1:201
	s_waitcnt lgkmcnt(0)
	v_add_f16_e32 v228, v197, v225
	v_add_f16_sdwa v246, v197, v225 dst_sel:DWORD dst_unused:UNUSED_PAD src0_sel:WORD_1 src1_sel:WORD_1
	v_sub_f16_e32 v248, v225, v197
	v_sub_f16_sdwa v40, v225, v197 dst_sel:DWORD dst_unused:UNUSED_PAD src0_sel:WORD_1 src1_sel:WORD_1
	ds_read2_b32 v[224:225], v186 offset0:32 offset1:81
	s_waitcnt lgkmcnt(0)
	v_add_f16_e32 v82, v198, v224
	v_add_f16_sdwa v84, v198, v224 dst_sel:DWORD dst_unused:UNUSED_PAD src0_sel:WORD_1 src1_sel:WORD_1
	v_sub_f16_e32 v87, v224, v198
	v_sub_f16_sdwa v88, v224, v198 dst_sel:DWORD dst_unused:UNUSED_PAD src0_sel:WORD_1 src1_sel:WORD_1
	v_add_f16_e32 v218, v240, v225
	v_add_f16_sdwa v198, v240, v225 dst_sel:DWORD dst_unused:UNUSED_PAD src0_sel:WORD_1 src1_sel:WORD_1
	v_sub_f16_e32 v197, v225, v240
	v_sub_f16_sdwa v97, v225, v240 dst_sel:DWORD dst_unused:UNUSED_PAD src0_sel:WORD_1 src1_sel:WORD_1
	v_sub_f16_sdwa v240, v89, v241 dst_sel:DWORD dst_unused:UNUSED_PAD src0_sel:WORD_1 src1_sel:WORD_1
	ds_read_b32 v98, v134 offset:9408
	ds_read2_b32 v[89:90], v185 offset0:76 offset1:125
	ds_read2_b32 v[252:253], v183 offset0:206 offset1:255
	s_waitcnt lgkmcnt(1)
	v_add_f16_e32 v249, v90, v98
	v_add_f16_sdwa v247, v90, v98 dst_sel:DWORD dst_unused:UNUSED_PAD src0_sel:WORD_1 src1_sel:WORD_1
	v_sub_f16_e32 v244, v90, v98
	v_sub_f16_sdwa v241, v90, v98 dst_sel:DWORD dst_unused:UNUSED_PAD src0_sel:WORD_1 src1_sel:WORD_1
	s_waitcnt lgkmcnt(0)
	v_add_f16_e32 v226, v89, v253
	v_add_f16_sdwa v225, v89, v253 dst_sel:DWORD dst_unused:UNUSED_PAD src0_sel:WORD_1 src1_sel:WORD_1
	v_sub_f16_e32 v224, v89, v253
	v_sub_f16_sdwa v221, v89, v253 dst_sel:DWORD dst_unused:UNUSED_PAD src0_sel:WORD_1 src1_sel:WORD_1
	ds_read2_b32 v[89:90], v213 offset0:106 offset1:155
	s_waitcnt lgkmcnt(0)
	v_add_f16_e32 v98, v90, v252
	v_add_f16_sdwa v80, v90, v252 dst_sel:DWORD dst_unused:UNUSED_PAD src0_sel:WORD_1 src1_sel:WORD_1
	v_sub_f16_e32 v81, v90, v252
	v_sub_f16_sdwa v86, v90, v252 dst_sel:DWORD dst_unused:UNUSED_PAD src0_sel:WORD_1 src1_sel:WORD_1
	ds_read2_b32 v[252:253], v183 offset0:108 offset1:157
	;; [unrolled: 6-line block ×5, first 2 shown]
	s_waitcnt lgkmcnt(0)
	v_add_f16_e32 v253, v90, v252
	v_add_f16_sdwa v0, v90, v252 dst_sel:DWORD dst_unused:UNUSED_PAD src0_sel:WORD_1 src1_sel:WORD_1
	v_add_f16_e32 v26, v251, v253
	v_sub_f16_e32 v1, v90, v252
	v_sub_f16_sdwa v25, v90, v252 dst_sel:DWORD dst_unused:UNUSED_PAD src0_sel:WORD_1 src1_sel:WORD_1
	v_sub_f16_e32 v27, v251, v253
	v_sub_f16_e32 v90, v253, v2
	v_add_f16_e32 v2, v2, v26
	v_add_f16_e32 v26, v250, v0
	v_sub_f16_e32 v29, v250, v0
	ds_read2_b32 v[250:251], v134 offset1:49
	v_sub_f16_e32 v0, v0, v3
	v_add_f16_e32 v3, v3, v26
	v_add_f16_e32 v26, v4, v255
	v_sub_f16_e32 v31, v255, v1
	v_add_f16_e32 v6, v26, v1
	v_add_f16_e32 v26, v5, v254
	v_sub_f16_e32 v8, v254, v25
	v_sub_f16_e32 v252, v4, v255
	;; [unrolled: 1-line block ×5, first 2 shown]
	v_add_f16_e32 v25, v26, v25
	v_mul_f16_e32 v26, 0x3a52, v90
	v_mul_f16_e32 v0, 0x3a52, v0
	s_waitcnt lgkmcnt(0)
	v_add_f16_e32 v33, v2, v250
	v_add_f16_sdwa v34, v3, v250 dst_sel:DWORD dst_unused:UNUSED_PAD src0_sel:DWORD src1_sel:WORD_1
	v_mul_f16_e32 v35, 0x3b00, v31
	v_mul_f16_e32 v90, 0x3b00, v8
	v_fma_f16 v2, v2, s6, v33
	v_fma_f16 v3, v3, s6, v34
	;; [unrolled: 1-line block ×4, first 2 shown]
	v_fma_f16 v250, v27, s1, -v26
	v_fma_f16 v254, v29, s1, -v0
	v_add_f16_e32 v250, v250, v2
	v_add_f16_e32 v7, v254, v3
	v_fma_f16 v35, v6, s2, v35
	v_fma_f16 v37, v25, s2, v90
	v_add_f16_e32 v38, v37, v250
	v_sub_f16_e32 v39, v7, v35
	v_pack_b32_f16 v38, v38, v39
	v_mul_f16_e32 v39, 0x3846, v252
	v_mul_f16_e32 v90, 0x3846, v253
	v_fma_f16 v26, v10, s12, v26
	v_fma_f16 v0, v30, s12, v0
	;; [unrolled: 1-line block ×4, first 2 shown]
	v_add_f16_e32 v26, v26, v2
	v_add_f16_e32 v1, v0, v3
	v_fma_f16 v4, v6, s2, v4
	v_fma_f16 v5, v25, s2, v5
	v_add_f16_e32 v252, v26, v5
	v_sub_f16_e32 v253, v1, v4
	v_pack_b32_f16 v0, v252, v253
	ds_read2_b32 v[252:253], v134 offset0:98 offset1:147
	ds_read2_b32 v[254:255], v134 offset0:196 offset1:245
	s_waitcnt lgkmcnt(0)
	; wave barrier
	s_waitcnt lgkmcnt(0)
	ds_write2_b32 v202, v0, v38 offset0:1 offset1:2
	v_mul_f16_e32 v0, 0x2b26, v10
	v_mul_f16_e32 v10, 0x2b26, v30
	v_fma_f16 v0, v27, s13, -v0
	v_fma_f16 v10, v29, s13, -v10
	;; [unrolled: 1-line block ×4, first 2 shown]
	v_add_f16_e32 v0, v0, v2
	v_add_f16_e32 v2, v10, v3
	v_fma_f16 v3, v6, s2, v27
	v_fma_f16 v6, v25, s2, v8
	v_sub_f16_e32 v8, v0, v6
	v_add_f16_e32 v0, v6, v0
	v_add_f16_e32 v6, v3, v2
	v_sub_f16_e32 v2, v2, v3
	v_pack_b32_f16 v0, v0, v2
	v_pack_b32_f16 v2, v8, v6
	ds_write2_b32 v202, v2, v0 offset0:3 offset1:4
	v_sub_f16_e32 v0, v250, v37
	v_add_f16_e32 v2, v35, v7
	v_sub_f16_e32 v3, v26, v5
	v_add_f16_e32 v1, v4, v1
	v_pack_b32_f16 v1, v3, v1
	v_pack_b32_f16 v0, v0, v2
	ds_write2_b32 v202, v0, v1 offset0:5 offset1:6
	v_lshlrev_b32_e32 v0, 16, v34
	v_or_b32_e32 v0, v0, v33
	v_sub_f16_e32 v2, v9, v11
	ds_write_b32 v202, v0
	v_add_f16_e32 v0, v126, v9
	v_sub_f16_e32 v1, v126, v9
	v_sub_f16_e32 v3, v11, v126
	v_add_f16_e32 v4, v127, v21
	v_mul_f16_e32 v2, 0x3a52, v2
	v_add_f16_e32 v0, v11, v0
	v_sub_f16_e32 v6, v21, v16
	v_sub_f16_e32 v7, v16, v127
	v_add_f16_e32 v4, v16, v4
	v_add_f16_e32 v8, v17, v124
	v_sub_f16_e32 v9, v17, v124
	v_sub_f16_e32 v10, v22, v17
	v_add_f16_e32 v16, v18, v123
	v_sub_f16_e32 v17, v18, v123
	v_fma_f16 v27, v1, s1, -v2
	v_fma_f16 v2, v3, s12, v2
	v_mul_f16_e32 v3, 0x2b26, v3
	v_sub_f16_e32 v5, v127, v21
	v_sub_f16_e32 v11, v124, v22
	v_add_f16_e32 v8, v8, v22
	v_sub_f16_e32 v18, v23, v18
	v_sub_f16_e32 v21, v123, v23
	v_add_f16_e32 v16, v16, v23
	v_add_f16_e32 v22, v0, v251
	v_add_f16_sdwa v23, v4, v251 dst_sel:DWORD dst_unused:UNUSED_PAD src0_sel:DWORD src1_sel:WORD_1
	v_mul_f16_e32 v6, 0x3a52, v6
	v_mul_f16_e32 v9, 0x3846, v9
	;; [unrolled: 1-line block ×3, first 2 shown]
	v_fma_f16 v1, v1, s13, -v3
	v_mul_f16_e32 v3, 0x2b26, v7
	v_fma_f16 v0, v0, s6, v22
	v_fma_f16 v4, v4, s6, v23
	v_mul_f16_e32 v25, 0x3b00, v11
	v_mul_f16_e32 v26, 0x3b00, v21
	v_fma_f16 v29, v5, s1, -v6
	v_fma_f16 v6, v7, s12, v6
	v_fma_f16 v3, v5, s13, -v3
	v_fma_f16 v5, v11, s3, -v9
	;; [unrolled: 1-line block ×3, first 2 shown]
	v_fma_f16 v25, v10, s7, v25
	v_fma_f16 v26, v18, s7, v26
	v_add_f16_e32 v27, v27, v0
	v_add_f16_e32 v29, v29, v4
	;; [unrolled: 1-line block ×6, first 2 shown]
	v_fma_f16 v3, v8, s2, v5
	v_fma_f16 v4, v16, s2, v7
	;; [unrolled: 1-line block ×6, first 2 shown]
	v_sub_f16_e32 v5, v0, v4
	v_add_f16_e32 v0, v4, v0
	v_add_f16_e32 v4, v3, v1
	v_sub_f16_e32 v1, v1, v3
	v_add_f16_e32 v30, v26, v27
	v_sub_f16_e32 v31, v29, v25
	v_fma_f16 v10, v8, s2, v10
	v_fma_f16 v18, v16, s2, v18
	v_pack_b32_f16 v0, v0, v1
	v_pack_b32_f16 v1, v5, v4
	;; [unrolled: 1-line block ×3, first 2 shown]
	v_add_f16_e32 v31, v2, v18
	ds_write2_b32 v203, v1, v0 offset0:3 offset1:4
	v_sub_f16_e32 v0, v27, v26
	v_add_f16_e32 v1, v25, v29
	v_sub_f16_e32 v2, v2, v18
	v_add_f16_e32 v3, v10, v6
	v_pack_b32_f16 v2, v2, v3
	v_pack_b32_f16 v0, v0, v1
	ds_write2_b32 v203, v0, v2 offset0:5 offset1:6
	v_lshlrev_b32_e32 v0, 16, v23
	v_or_b32_e32 v0, v0, v22
	v_sub_f16_e32 v2, v19, v137
	ds_write_b32 v203, v0
	v_add_f16_e32 v0, v133, v19
	v_sub_f16_e32 v1, v133, v19
	v_sub_f16_e32 v3, v137, v133
	v_add_f16_e32 v4, v130, v20
	v_add_f16_e32 v8, v222, v128
	v_mul_f16_e32 v2, 0x3a52, v2
	v_sub_f16_e32 v33, v6, v10
	v_add_f16_e32 v0, v137, v0
	v_sub_f16_e32 v6, v20, v219
	v_sub_f16_e32 v7, v219, v130
	v_add_f16_e32 v4, v219, v4
	v_sub_f16_e32 v9, v222, v128
	v_sub_f16_e32 v10, v24, v222
	;; [unrolled: 1-line block ×3, first 2 shown]
	v_add_f16_e32 v8, v8, v24
	v_sub_f16_e32 v17, v227, v125
	v_fma_f16 v24, v1, s1, -v2
	v_fma_f16 v2, v3, s12, v2
	v_mul_f16_e32 v3, 0x2b26, v3
	v_sub_f16_e32 v5, v130, v20
	v_add_f16_e32 v16, v227, v125
	v_sub_f16_e32 v19, v125, v85
	v_mul_f16_e32 v6, 0x3a52, v6
	v_add_f16_e32 v20, v0, v252
	v_add_f16_sdwa v21, v4, v252 dst_sel:DWORD dst_unused:UNUSED_PAD src0_sel:DWORD src1_sel:WORD_1
	v_mul_f16_e32 v9, 0x3846, v9
	v_mul_f16_e32 v17, 0x3846, v17
	v_fma_f16 v1, v1, s13, -v3
	v_mul_f16_e32 v3, 0x2b26, v7
	v_sub_f16_e32 v18, v85, v227
	v_add_f16_e32 v16, v16, v85
	v_fma_f16 v0, v0, s6, v20
	v_fma_f16 v4, v4, s6, v21
	v_mul_f16_e32 v22, 0x3b00, v11
	v_mul_f16_e32 v23, 0x3b00, v19
	v_fma_f16 v25, v5, s1, -v6
	v_fma_f16 v6, v7, s12, v6
	v_fma_f16 v3, v5, s13, -v3
	v_fma_f16 v5, v11, s3, -v9
	;; [unrolled: 1-line block ×3, first 2 shown]
	v_fma_f16 v22, v10, s7, v22
	v_fma_f16 v23, v18, s7, v23
	v_add_f16_e32 v24, v24, v0
	v_add_f16_e32 v25, v25, v4
	;; [unrolled: 1-line block ×6, first 2 shown]
	v_fma_f16 v3, v8, s2, v5
	v_fma_f16 v4, v16, s2, v7
	v_fma_f16 v22, v8, s2, v22
	v_fma_f16 v23, v16, s2, v23
	v_fma_f16 v10, v10, s0, v9
	v_fma_f16 v18, v18, s0, v17
	v_sub_f16_e32 v5, v0, v4
	v_add_f16_e32 v0, v4, v0
	v_add_f16_e32 v4, v3, v1
	v_sub_f16_e32 v1, v1, v3
	v_pack_b32_f16 v31, v31, v33
	v_add_f16_e32 v26, v23, v24
	v_sub_f16_e32 v27, v25, v22
	v_fma_f16 v10, v8, s2, v10
	v_fma_f16 v18, v16, s2, v18
	v_pack_b32_f16 v0, v0, v1
	v_pack_b32_f16 v1, v5, v4
	ds_write2_b32 v203, v31, v30 offset0:1 offset1:2
	v_pack_b32_f16 v26, v26, v27
	v_add_f16_e32 v27, v2, v18
	ds_write2_b32 v204, v1, v0 offset0:3 offset1:4
	v_sub_f16_e32 v0, v24, v23
	v_add_f16_e32 v1, v22, v25
	v_sub_f16_e32 v2, v2, v18
	v_add_f16_e32 v3, v10, v6
	v_pack_b32_f16 v2, v2, v3
	v_pack_b32_f16 v0, v0, v1
	ds_write2_b32 v204, v0, v2 offset0:5 offset1:6
	v_lshlrev_b32_e32 v0, 16, v21
	v_or_b32_e32 v0, v0, v20
	v_sub_f16_e32 v2, v28, v228
	ds_write_b32 v204, v0
	v_add_f16_e32 v0, v200, v28
	v_sub_f16_e32 v1, v200, v28
	v_sub_f16_e32 v3, v228, v200
	v_add_f16_e32 v4, v201, v32
	v_mul_f16_e32 v2, 0x3a52, v2
	v_sub_f16_e32 v29, v6, v10
	v_add_f16_e32 v0, v228, v0
	v_sub_f16_e32 v6, v32, v246
	v_sub_f16_e32 v7, v246, v201
	v_add_f16_e32 v4, v246, v4
	v_sub_f16_e32 v9, v248, v131
	v_sub_f16_e32 v17, v40, v129
	v_fma_f16 v24, v1, s1, -v2
	v_fma_f16 v2, v3, s12, v2
	v_mul_f16_e32 v3, 0x2b26, v3
	v_sub_f16_e32 v5, v201, v32
	v_add_f16_e32 v8, v248, v131
	v_sub_f16_e32 v11, v131, v83
	v_add_f16_e32 v16, v40, v129
	;; [unrolled: 2-line block ×3, first 2 shown]
	v_add_f16_sdwa v21, v4, v253 dst_sel:DWORD dst_unused:UNUSED_PAD src0_sel:DWORD src1_sel:WORD_1
	v_mul_f16_e32 v6, 0x3a52, v6
	v_mul_f16_e32 v9, 0x3846, v9
	;; [unrolled: 1-line block ×3, first 2 shown]
	v_fma_f16 v1, v1, s13, -v3
	v_mul_f16_e32 v3, 0x2b26, v7
	v_sub_f16_e32 v10, v83, v248
	v_add_f16_e32 v8, v8, v83
	v_sub_f16_e32 v18, v36, v40
	v_add_f16_e32 v16, v16, v36
	v_fma_f16 v0, v0, s6, v20
	v_fma_f16 v4, v4, s6, v21
	v_mul_f16_e32 v22, 0x3b00, v11
	v_mul_f16_e32 v23, 0x3b00, v19
	v_fma_f16 v25, v5, s1, -v6
	v_fma_f16 v6, v7, s12, v6
	v_fma_f16 v3, v5, s13, -v3
	v_fma_f16 v5, v11, s3, -v9
	;; [unrolled: 1-line block ×3, first 2 shown]
	v_fma_f16 v22, v10, s7, v22
	v_fma_f16 v23, v18, s7, v23
	v_add_f16_e32 v24, v24, v0
	v_add_f16_e32 v25, v25, v4
	;; [unrolled: 1-line block ×6, first 2 shown]
	v_fma_f16 v3, v8, s2, v5
	v_fma_f16 v4, v16, s2, v7
	v_pack_b32_f16 v27, v27, v29
	v_fma_f16 v22, v8, s2, v22
	v_fma_f16 v23, v16, s2, v23
	;; [unrolled: 1-line block ×4, first 2 shown]
	v_sub_f16_e32 v5, v0, v4
	v_add_f16_e32 v0, v4, v0
	v_add_f16_e32 v4, v3, v1
	v_sub_f16_e32 v1, v1, v3
	ds_write2_b32 v204, v27, v26 offset0:1 offset1:2
	v_add_f16_e32 v26, v23, v24
	v_sub_f16_e32 v27, v25, v22
	v_fma_f16 v10, v8, s2, v10
	v_fma_f16 v18, v16, s2, v18
	v_pack_b32_f16 v0, v0, v1
	v_pack_b32_f16 v1, v5, v4
	;; [unrolled: 1-line block ×3, first 2 shown]
	v_add_f16_e32 v27, v2, v18
	ds_write2_b32 v205, v1, v0 offset0:3 offset1:4
	v_sub_f16_e32 v0, v24, v23
	v_add_f16_e32 v1, v22, v25
	v_sub_f16_e32 v2, v2, v18
	v_add_f16_e32 v3, v10, v6
	v_pack_b32_f16 v2, v2, v3
	v_pack_b32_f16 v0, v0, v1
	ds_write2_b32 v205, v0, v2 offset0:5 offset1:6
	v_lshlrev_b32_e32 v0, 16, v21
	v_or_b32_e32 v0, v0, v20
	v_sub_f16_e32 v2, v98, v82
	ds_write_b32 v205, v0
	v_add_f16_e32 v0, v234, v98
	v_sub_f16_e32 v1, v234, v98
	v_sub_f16_e32 v3, v82, v234
	v_add_f16_e32 v4, v231, v80
	v_mul_f16_e32 v2, 0x3a52, v2
	v_sub_f16_e32 v28, v6, v10
	v_add_f16_e32 v0, v82, v0
	v_sub_f16_e32 v6, v80, v84
	v_sub_f16_e32 v7, v84, v231
	v_add_f16_e32 v4, v84, v4
	v_sub_f16_e32 v9, v87, v229
	v_sub_f16_e32 v17, v88, v132
	v_fma_f16 v24, v1, s1, -v2
	v_fma_f16 v2, v3, s12, v2
	v_mul_f16_e32 v3, 0x2b26, v3
	v_sub_f16_e32 v5, v231, v80
	v_add_f16_e32 v8, v87, v229
	v_sub_f16_e32 v11, v229, v81
	v_add_f16_e32 v16, v88, v132
	v_sub_f16_e32 v19, v132, v86
	v_mul_f16_e32 v6, 0x3a52, v6
	v_add_f16_e32 v20, v0, v254
	v_add_f16_sdwa v21, v4, v254 dst_sel:DWORD dst_unused:UNUSED_PAD src0_sel:DWORD src1_sel:WORD_1
	v_mul_f16_e32 v9, 0x3846, v9
	v_mul_f16_e32 v17, 0x3846, v17
	v_fma_f16 v1, v1, s13, -v3
	v_mul_f16_e32 v3, 0x2b26, v7
	v_sub_f16_e32 v10, v81, v87
	v_add_f16_e32 v8, v8, v81
	v_sub_f16_e32 v18, v86, v88
	v_add_f16_e32 v16, v16, v86
	v_fma_f16 v0, v0, s6, v20
	v_fma_f16 v4, v4, s6, v21
	v_mul_f16_e32 v22, 0x3b00, v11
	v_mul_f16_e32 v23, 0x3b00, v19
	v_fma_f16 v25, v5, s1, -v6
	v_fma_f16 v6, v7, s12, v6
	v_fma_f16 v3, v5, s13, -v3
	v_fma_f16 v5, v11, s3, -v9
	;; [unrolled: 1-line block ×3, first 2 shown]
	v_fma_f16 v22, v10, s7, v22
	v_fma_f16 v23, v18, s7, v23
	v_add_f16_e32 v24, v24, v0
	v_add_f16_e32 v25, v25, v4
	;; [unrolled: 1-line block ×6, first 2 shown]
	v_fma_f16 v3, v8, s2, v5
	v_fma_f16 v4, v16, s2, v7
	v_pack_b32_f16 v27, v27, v28
	v_fma_f16 v22, v8, s2, v22
	v_fma_f16 v23, v16, s2, v23
	;; [unrolled: 1-line block ×4, first 2 shown]
	v_sub_f16_e32 v5, v0, v4
	v_add_f16_e32 v0, v4, v0
	v_add_f16_e32 v4, v3, v1
	v_sub_f16_e32 v1, v1, v3
	ds_write2_b32 v205, v27, v26 offset0:1 offset1:2
	v_add_f16_e32 v26, v23, v24
	v_sub_f16_e32 v27, v25, v22
	v_fma_f16 v10, v8, s2, v10
	v_fma_f16 v18, v16, s2, v18
	v_pack_b32_f16 v0, v0, v1
	v_pack_b32_f16 v1, v5, v4
	;; [unrolled: 1-line block ×3, first 2 shown]
	v_add_f16_e32 v27, v2, v18
	ds_write2_b32 v208, v1, v0 offset0:3 offset1:4
	v_sub_f16_e32 v0, v24, v23
	v_add_f16_e32 v1, v22, v25
	v_sub_f16_e32 v2, v2, v18
	v_add_f16_e32 v3, v10, v6
	v_pack_b32_f16 v2, v2, v3
	v_pack_b32_f16 v0, v0, v1
	ds_write2_b32 v208, v0, v2 offset0:5 offset1:6
	v_lshlrev_b32_e32 v0, 16, v21
	v_or_b32_e32 v0, v0, v20
	v_sub_f16_e32 v2, v226, v218
	ds_write_b32 v208, v0
	v_add_f16_e32 v0, v235, v226
	v_sub_f16_e32 v1, v235, v226
	v_sub_f16_e32 v3, v218, v235
	v_add_f16_e32 v4, v236, v225
	v_mul_f16_e32 v2, 0x3a52, v2
	v_sub_f16_e32 v28, v6, v10
	v_add_f16_e32 v0, v218, v0
	v_sub_f16_e32 v6, v225, v198
	v_sub_f16_e32 v7, v198, v236
	v_add_f16_e32 v4, v198, v4
	v_sub_f16_e32 v9, v197, v232
	v_sub_f16_e32 v17, v97, v230
	v_fma_f16 v24, v1, s1, -v2
	v_fma_f16 v2, v3, s12, v2
	v_mul_f16_e32 v3, 0x2b26, v3
	v_sub_f16_e32 v5, v236, v225
	v_add_f16_e32 v8, v197, v232
	v_sub_f16_e32 v11, v232, v224
	v_add_f16_e32 v16, v97, v230
	;; [unrolled: 2-line block ×3, first 2 shown]
	v_add_f16_sdwa v21, v4, v255 dst_sel:DWORD dst_unused:UNUSED_PAD src0_sel:DWORD src1_sel:WORD_1
	v_mul_f16_e32 v6, 0x3a52, v6
	v_mul_f16_e32 v9, 0x3846, v9
	;; [unrolled: 1-line block ×3, first 2 shown]
	v_fma_f16 v1, v1, s13, -v3
	v_mul_f16_e32 v3, 0x2b26, v7
	v_sub_f16_e32 v10, v224, v197
	v_add_f16_e32 v8, v8, v224
	v_sub_f16_e32 v18, v221, v97
	v_add_f16_e32 v16, v16, v221
	v_fma_f16 v0, v0, s6, v20
	v_fma_f16 v4, v4, s6, v21
	v_mul_f16_e32 v22, 0x3b00, v11
	v_mul_f16_e32 v23, 0x3b00, v19
	v_fma_f16 v25, v5, s1, -v6
	v_fma_f16 v6, v7, s12, v6
	v_fma_f16 v3, v5, s13, -v3
	v_fma_f16 v5, v11, s3, -v9
	;; [unrolled: 1-line block ×3, first 2 shown]
	v_fma_f16 v22, v10, s7, v22
	v_fma_f16 v23, v18, s7, v23
	v_add_f16_e32 v24, v24, v0
	v_add_f16_e32 v25, v25, v4
	;; [unrolled: 1-line block ×6, first 2 shown]
	v_fma_f16 v3, v8, s2, v5
	v_fma_f16 v4, v16, s2, v7
	v_pack_b32_f16 v27, v27, v28
	v_fma_f16 v22, v8, s2, v22
	v_fma_f16 v23, v16, s2, v23
	;; [unrolled: 1-line block ×4, first 2 shown]
	v_sub_f16_e32 v5, v0, v4
	v_add_f16_e32 v0, v4, v0
	v_add_f16_e32 v4, v3, v1
	v_sub_f16_e32 v1, v1, v3
	ds_write2_b32 v208, v27, v26 offset0:1 offset1:2
	v_add_f16_e32 v26, v23, v24
	v_sub_f16_e32 v27, v25, v22
	v_fma_f16 v10, v8, s2, v10
	v_fma_f16 v18, v16, s2, v18
	v_pack_b32_f16 v0, v0, v1
	v_pack_b32_f16 v1, v5, v4
	;; [unrolled: 1-line block ×3, first 2 shown]
	v_add_f16_e32 v27, v2, v18
	ds_write2_b32 v214, v1, v0 offset0:3 offset1:4
	v_sub_f16_e32 v0, v24, v23
	v_add_f16_e32 v1, v22, v25
	v_sub_f16_e32 v2, v2, v18
	v_add_f16_e32 v3, v10, v6
	v_pack_b32_f16 v2, v2, v3
	v_pack_b32_f16 v0, v0, v1
	ds_write2_b32 v214, v0, v2 offset0:5 offset1:6
	v_lshlrev_b32_e32 v0, 16, v21
	v_or_b32_e32 v0, v0, v20
	v_sub_f16_e32 v2, v249, v245
	ds_write_b32 v214, v0
	v_add_f16_e32 v0, v239, v249
	v_sub_f16_e32 v1, v239, v249
	v_sub_f16_e32 v3, v245, v239
	v_add_f16_e32 v4, v238, v247
	v_mul_f16_e32 v2, 0x3a52, v2
	v_sub_f16_e32 v28, v6, v10
	v_add_f16_e32 v0, v245, v0
	v_sub_f16_e32 v6, v247, v243
	v_sub_f16_e32 v7, v243, v238
	v_add_f16_e32 v4, v243, v4
	v_sub_f16_e32 v9, v242, v237
	v_sub_f16_e32 v17, v240, v233
	v_fma_f16 v24, v1, s1, -v2
	v_fma_f16 v2, v3, s12, v2
	v_mul_f16_e32 v3, 0x2b26, v3
	v_sub_f16_e32 v5, v238, v247
	v_add_f16_e32 v8, v242, v237
	v_sub_f16_e32 v11, v237, v244
	v_add_f16_e32 v16, v240, v233
	;; [unrolled: 2-line block ×3, first 2 shown]
	v_add_f16_sdwa v21, v4, v89 dst_sel:DWORD dst_unused:UNUSED_PAD src0_sel:DWORD src1_sel:WORD_1
	v_mul_f16_e32 v6, 0x3a52, v6
	v_mul_f16_e32 v9, 0x3846, v9
	;; [unrolled: 1-line block ×3, first 2 shown]
	v_fma_f16 v1, v1, s13, -v3
	v_mul_f16_e32 v3, 0x2b26, v7
	v_sub_f16_e32 v10, v244, v242
	v_add_f16_e32 v8, v8, v244
	v_sub_f16_e32 v18, v241, v240
	v_add_f16_e32 v16, v16, v241
	v_fma_f16 v0, v0, s6, v20
	v_fma_f16 v4, v4, s6, v21
	v_mul_f16_e32 v22, 0x3b00, v11
	v_mul_f16_e32 v23, 0x3b00, v19
	v_fma_f16 v25, v5, s1, -v6
	v_fma_f16 v6, v7, s12, v6
	v_fma_f16 v3, v5, s13, -v3
	v_fma_f16 v5, v11, s3, -v9
	;; [unrolled: 1-line block ×3, first 2 shown]
	v_fma_f16 v22, v10, s7, v22
	v_fma_f16 v23, v18, s7, v23
	v_add_f16_e32 v24, v24, v0
	v_add_f16_e32 v25, v25, v4
	;; [unrolled: 1-line block ×6, first 2 shown]
	v_fma_f16 v3, v8, s2, v5
	v_fma_f16 v4, v16, s2, v7
	v_pack_b32_f16 v27, v27, v28
	v_fma_f16 v22, v8, s2, v22
	v_fma_f16 v23, v16, s2, v23
	;; [unrolled: 1-line block ×4, first 2 shown]
	v_sub_f16_e32 v5, v0, v4
	v_add_f16_e32 v0, v4, v0
	v_add_f16_e32 v4, v3, v1
	v_sub_f16_e32 v1, v1, v3
	ds_write2_b32 v214, v27, v26 offset0:1 offset1:2
	v_add_f16_e32 v26, v23, v24
	v_sub_f16_e32 v27, v25, v22
	v_fma_f16 v10, v8, s2, v10
	v_fma_f16 v18, v16, s2, v18
	v_pack_b32_f16 v0, v0, v1
	v_pack_b32_f16 v1, v5, v4
	;; [unrolled: 1-line block ×3, first 2 shown]
	v_add_f16_e32 v27, v2, v18
	ds_write2_b32 v210, v1, v0 offset0:3 offset1:4
	v_sub_f16_e32 v0, v24, v23
	v_add_f16_e32 v1, v22, v25
	v_sub_f16_e32 v2, v2, v18
	v_add_f16_e32 v3, v10, v6
	v_pack_b32_f16 v2, v2, v3
	v_pack_b32_f16 v0, v0, v1
	v_sub_f16_e32 v28, v6, v10
	ds_write2_b32 v210, v0, v2 offset0:5 offset1:6
	v_lshlrev_b32_e32 v0, 16, v21
	v_pack_b32_f16 v27, v27, v28
	v_or_b32_e32 v0, v0, v20
	ds_write2_b32 v210, v27, v26 offset0:1 offset1:2
	ds_write_b32 v210, v0
	s_waitcnt lgkmcnt(0)
	; wave barrier
	s_waitcnt lgkmcnt(0)
	ds_read2_b32 v[89:90], v194 offset0:38 offset1:87
	ds_read2_b32 v[123:124], v185 offset0:174 offset1:223
	;; [unrolled: 1-line block ×4, first 2 shown]
	s_waitcnt lgkmcnt(3)
	v_lshrrev_b32_e32 v0, 16, v90
	v_mul_f16_sdwa v1, v158, v90 dst_sel:DWORD dst_unused:UNUSED_PAD src0_sel:WORD_1 src1_sel:DWORD
	v_fma_f16 v4, v158, v0, -v1
	v_mul_f16_sdwa v0, v158, v0 dst_sel:DWORD dst_unused:UNUSED_PAD src0_sel:WORD_1 src1_sel:DWORD
	v_fma_f16 v5, v158, v90, v0
	s_waitcnt lgkmcnt(2)
	v_lshrrev_b32_e32 v0, 16, v123
	v_mul_f16_sdwa v1, v159, v123 dst_sel:DWORD dst_unused:UNUSED_PAD src0_sel:WORD_1 src1_sel:DWORD
	v_fma_f16 v38, v159, v0, -v1
	v_mul_f16_sdwa v0, v159, v0 dst_sel:DWORD dst_unused:UNUSED_PAD src0_sel:WORD_1 src1_sel:DWORD
	v_fma_f16 v39, v159, v123, v0
	ds_read2_b32 v[0:1], v188 offset0:92 offset1:141
	s_waitcnt lgkmcnt(2)
	v_lshrrev_b32_e32 v2, 16, v198
	v_mul_f16_sdwa v3, v160, v198 dst_sel:DWORD dst_unused:UNUSED_PAD src0_sel:WORD_1 src1_sel:DWORD
	v_fma_f16 v80, v160, v2, -v3
	v_mul_f16_sdwa v2, v160, v2 dst_sel:DWORD dst_unused:UNUSED_PAD src0_sel:WORD_1 src1_sel:DWORD
	v_fma_f16 v81, v160, v198, v2
	s_waitcnt lgkmcnt(0)
	v_lshrrev_b32_e32 v2, 16, v0
	v_mul_f16_sdwa v3, v161, v0 dst_sel:DWORD dst_unused:UNUSED_PAD src0_sel:WORD_1 src1_sel:DWORD
	v_fma_f16 v82, v161, v2, -v3
	v_mul_f16_sdwa v2, v161, v2 dst_sel:DWORD dst_unused:UNUSED_PAD src0_sel:WORD_1 src1_sel:DWORD
	v_fma_f16 v83, v161, v0, v2
	v_lshrrev_b32_e32 v0, 16, v124
	v_mul_f16_sdwa v2, v92, v0 dst_sel:DWORD dst_unused:UNUSED_PAD src0_sel:WORD_1 src1_sel:DWORD
	v_fma_f16 v204, v92, v124, v2
	v_mul_f16_sdwa v2, v92, v124 dst_sel:DWORD dst_unused:UNUSED_PAD src0_sel:WORD_1 src1_sel:DWORD
	v_fma_f16 v205, v92, v0, -v2
	v_lshrrev_b32_e32 v0, 16, v1
	ds_read2_b32 v[2:3], v194 offset0:136 offset1:185
	v_mul_f16_sdwa v6, v94, v0 dst_sel:DWORD dst_unused:UNUSED_PAD src0_sel:WORD_1 src1_sel:DWORD
	v_fma_f16 v208, v94, v1, v6
	v_mul_f16_sdwa v1, v94, v1 dst_sel:DWORD dst_unused:UNUSED_PAD src0_sel:WORD_1 src1_sel:DWORD
	v_fma_f16 v210, v94, v0, -v1
	ds_read2_b32 v[0:1], v187 offset0:54 offset1:103
	s_waitcnt lgkmcnt(1)
	v_lshrrev_b32_e32 v6, 16, v2
	v_mul_f16_sdwa v7, v91, v2 dst_sel:DWORD dst_unused:UNUSED_PAD src0_sel:WORD_1 src1_sel:DWORD
	v_fma_f16 v229, v91, v6, -v7
	v_mul_f16_sdwa v6, v91, v6 dst_sel:DWORD dst_unused:UNUSED_PAD src0_sel:WORD_1 src1_sel:DWORD
	v_fma_f16 v231, v91, v2, v6
	s_waitcnt lgkmcnt(0)
	v_lshrrev_b32_e32 v2, 16, v0
	v_mul_f16_sdwa v6, v93, v0 dst_sel:DWORD dst_unused:UNUSED_PAD src0_sel:WORD_1 src1_sel:DWORD
	v_fma_f16 v214, v93, v2, -v6
	v_mul_f16_sdwa v2, v93, v2 dst_sel:DWORD dst_unused:UNUSED_PAD src0_sel:WORD_1 src1_sel:DWORD
	v_fma_f16 v230, v93, v0, v2
	v_lshrrev_b32_e32 v0, 16, v3
	v_mul_f16_sdwa v2, v138, v0 dst_sel:DWORD dst_unused:UNUSED_PAD src0_sel:WORD_1 src1_sel:DWORD
	v_fma_f16 v130, v138, v3, v2
	v_mul_f16_sdwa v2, v138, v3 dst_sel:DWORD dst_unused:UNUSED_PAD src0_sel:WORD_1 src1_sel:DWORD
	v_fma_f16 v131, v138, v0, -v2
	v_lshrrev_b32_e32 v0, 16, v1
	ds_read2_b32 v[2:3], v184 offset0:16 offset1:65
	v_mul_f16_sdwa v6, v140, v0 dst_sel:DWORD dst_unused:UNUSED_PAD src0_sel:WORD_1 src1_sel:DWORD
	v_fma_f16 v132, v140, v1, v6
	v_mul_f16_sdwa v1, v140, v1 dst_sel:DWORD dst_unused:UNUSED_PAD src0_sel:WORD_1 src1_sel:DWORD
	v_fma_f16 v133, v140, v0, -v1
	;; [unrolled: 24-line block ×4, first 2 shown]
	ds_read2_b32 v[0:1], v186 offset0:32 offset1:81
	s_waitcnt lgkmcnt(1)
	v_lshrrev_b32_e32 v6, 16, v2
	v_mul_f16_sdwa v7, v147, v2 dst_sel:DWORD dst_unused:UNUSED_PAD src0_sel:WORD_1 src1_sel:DWORD
	v_fma_f16 v40, v147, v6, -v7
	v_mul_f16_sdwa v6, v147, v6 dst_sel:DWORD dst_unused:UNUSED_PAD src0_sel:WORD_1 src1_sel:DWORD
	v_fma_f16 v42, v147, v2, v6
	s_waitcnt lgkmcnt(0)
	v_lshrrev_b32_e32 v2, 16, v0
	v_mul_f16_sdwa v6, v149, v0 dst_sel:DWORD dst_unused:UNUSED_PAD src0_sel:WORD_1 src1_sel:DWORD
	v_mov_b32_e32 v158, v41
	v_fma_f16 v41, v149, v2, -v6
	v_mul_f16_sdwa v2, v149, v2 dst_sel:DWORD dst_unused:UNUSED_PAD src0_sel:WORD_1 src1_sel:DWORD
	v_fma_f16 v43, v149, v0, v2
	v_lshrrev_b32_e32 v0, 16, v3
	v_mul_f16_sdwa v2, v151, v0 dst_sel:DWORD dst_unused:UNUSED_PAD src0_sel:WORD_1 src1_sel:DWORD
	v_fma_f16 v24, v151, v3, v2
	v_mul_f16_sdwa v2, v151, v3 dst_sel:DWORD dst_unused:UNUSED_PAD src0_sel:WORD_1 src1_sel:DWORD
	v_fma_f16 v25, v151, v0, -v2
	v_lshrrev_b32_e32 v0, 16, v1
	ds_read2_b32 v[2:3], v185 offset0:76 offset1:125
	v_mul_f16_sdwa v6, v153, v0 dst_sel:DWORD dst_unused:UNUSED_PAD src0_sel:WORD_1 src1_sel:DWORD
	v_fma_f16 v26, v153, v1, v6
	v_mul_f16_sdwa v1, v153, v1 dst_sel:DWORD dst_unused:UNUSED_PAD src0_sel:WORD_1 src1_sel:DWORD
	v_fma_f16 v23, v153, v0, -v1
	ds_read2_b32 v[0:1], v220 offset0:122 offset1:171
	s_waitcnt lgkmcnt(1)
	v_lshrrev_b32_e32 v6, 16, v2
	v_mul_f16_sdwa v7, v150, v2 dst_sel:DWORD dst_unused:UNUSED_PAD src0_sel:WORD_1 src1_sel:DWORD
	v_fma_f16 v28, v150, v6, -v7
	v_mul_f16_sdwa v6, v150, v6 dst_sel:DWORD dst_unused:UNUSED_PAD src0_sel:WORD_1 src1_sel:DWORD
	v_fma_f16 v29, v150, v2, v6
	s_waitcnt lgkmcnt(0)
	v_lshrrev_b32_e32 v2, 16, v0
	v_mul_f16_sdwa v6, v152, v0 dst_sel:DWORD dst_unused:UNUSED_PAD src0_sel:WORD_1 src1_sel:DWORD
	v_fma_f16 v27, v152, v2, -v6
	v_mul_f16_sdwa v2, v152, v2 dst_sel:DWORD dst_unused:UNUSED_PAD src0_sel:WORD_1 src1_sel:DWORD
	v_fma_f16 v22, v152, v0, v2
	v_lshrrev_b32_e32 v0, 16, v3
	v_mul_f16_sdwa v2, v154, v0 dst_sel:DWORD dst_unused:UNUSED_PAD src0_sel:WORD_1 src1_sel:DWORD
	v_fma_f16 v227, v154, v3, v2
	v_mul_f16_sdwa v2, v154, v3 dst_sel:DWORD dst_unused:UNUSED_PAD src0_sel:WORD_1 src1_sel:DWORD
	v_fma_f16 v251, v154, v0, -v2
	v_lshrrev_b32_e32 v0, 16, v197
	v_mul_f16_sdwa v2, v155, v0 dst_sel:DWORD dst_unused:UNUSED_PAD src0_sel:WORD_1 src1_sel:DWORD
	v_fma_f16 v16, v155, v197, v2
	v_mul_f16_sdwa v2, v155, v197 dst_sel:DWORD dst_unused:UNUSED_PAD src0_sel:WORD_1 src1_sel:DWORD
	v_fma_f16 v17, v155, v0, -v2
	;; [unrolled: 5-line block ×3, first 2 shown]
	v_lshrrev_b32_e32 v0, 16, v34
	v_mul_f16_sdwa v1, v157, v34 dst_sel:DWORD dst_unused:UNUSED_PAD src0_sel:WORD_1 src1_sel:DWORD
	v_fma_f16 v21, v157, v0, -v1
	v_mul_f16_sdwa v0, v157, v0 dst_sel:DWORD dst_unused:UNUSED_PAD src0_sel:WORD_1 src1_sel:DWORD
	v_fma_f16 v19, v157, v34, v0
	ds_read2_b32 v[0:1], v183 offset0:10 offset1:59
	v_lshrrev_b32_e32 v2, 16, v35
	v_mul_f16_sdwa v3, v178, v2 dst_sel:DWORD dst_unused:UNUSED_PAD src0_sel:WORD_1 src1_sel:DWORD
	v_mul_f16_sdwa v6, v178, v35 dst_sel:DWORD dst_unused:UNUSED_PAD src0_sel:WORD_1 src1_sel:DWORD
	v_fma_f16 v3, v178, v35, v3
	v_fma_f16 v2, v178, v2, -v6
	s_waitcnt lgkmcnt(0)
	v_lshrrev_b32_e32 v6, 16, v0
	v_mul_f16_sdwa v7, v179, v0 dst_sel:DWORD dst_unused:UNUSED_PAD src0_sel:WORD_1 src1_sel:DWORD
	ds_read2_b32 v[34:35], v189 offset0:100 offset1:149
	v_fma_f16 v84, v179, v6, -v7
	v_mul_f16_sdwa v6, v179, v6 dst_sel:DWORD dst_unused:UNUSED_PAD src0_sel:WORD_1 src1_sel:DWORD
	v_fma_f16 v7, v179, v0, v6
	v_lshrrev_b32_e32 v0, 16, v1
	v_mul_f16_sdwa v6, v177, v0 dst_sel:DWORD dst_unused:UNUSED_PAD src0_sel:WORD_1 src1_sel:DWORD
	v_fma_f16 v239, v177, v1, v6
	v_mul_f16_sdwa v1, v177, v1 dst_sel:DWORD dst_unused:UNUSED_PAD src0_sel:WORD_1 src1_sel:DWORD
	v_fma_f16 v240, v177, v0, -v1
	s_waitcnt lgkmcnt(0)
	v_lshrrev_b32_e32 v0, 16, v34
	v_mul_f16_sdwa v1, v176, v34 dst_sel:DWORD dst_unused:UNUSED_PAD src0_sel:WORD_1 src1_sel:DWORD
	v_fma_f16 v238, v176, v0, -v1
	v_mul_f16_sdwa v0, v176, v0 dst_sel:DWORD dst_unused:UNUSED_PAD src0_sel:WORD_1 src1_sel:DWORD
	v_fma_f16 v241, v176, v34, v0
	ds_read2_b32 v[0:1], v183 offset0:108 offset1:157
	v_lshrrev_b32_e32 v6, 16, v35
	v_mul_f16_sdwa v8, v135, v6 dst_sel:DWORD dst_unused:UNUSED_PAD src0_sel:WORD_1 src1_sel:DWORD
	v_fma_f16 v234, v135, v35, v8
	v_mul_f16_sdwa v8, v135, v35 dst_sel:DWORD dst_unused:UNUSED_PAD src0_sel:WORD_1 src1_sel:DWORD
	v_fma_f16 v235, v135, v6, -v8
	s_waitcnt lgkmcnt(0)
	v_lshrrev_b32_e32 v6, 16, v0
	v_mul_f16_sdwa v8, v136, v0 dst_sel:DWORD dst_unused:UNUSED_PAD src0_sel:WORD_1 src1_sel:DWORD
	ds_read2_b32 v[34:35], v182 offset0:70 offset1:119
	v_fma_f16 v236, v136, v6, -v8
	v_mul_f16_sdwa v6, v136, v6 dst_sel:DWORD dst_unused:UNUSED_PAD src0_sel:WORD_1 src1_sel:DWORD
	v_fma_f16 v237, v136, v0, v6
	v_lshrrev_b32_e32 v0, 16, v1
	v_mul_f16_sdwa v6, v96, v0 dst_sel:DWORD dst_unused:UNUSED_PAD src0_sel:WORD_1 src1_sel:DWORD
	v_fma_f16 v37, v96, v1, v6
	v_mul_f16_sdwa v1, v96, v1 dst_sel:DWORD dst_unused:UNUSED_PAD src0_sel:WORD_1 src1_sel:DWORD
	v_fma_f16 v232, v96, v0, -v1
	s_waitcnt lgkmcnt(0)
	v_lshrrev_b32_e32 v0, 16, v34
	v_mul_f16_sdwa v1, v95, v34 dst_sel:DWORD dst_unused:UNUSED_PAD src0_sel:WORD_1 src1_sel:DWORD
	v_fma_f16 v36, v95, v0, -v1
	v_mul_f16_sdwa v0, v95, v0 dst_sel:DWORD dst_unused:UNUSED_PAD src0_sel:WORD_1 src1_sel:DWORD
	v_fma_f16 v233, v95, v34, v0
	ds_read2_b32 v[0:1], v183 offset0:206 offset1:255
	v_lshrrev_b32_e32 v6, 16, v35
	v_mul_f16_sdwa v8, v180, v6 dst_sel:DWORD dst_unused:UNUSED_PAD src0_sel:WORD_1 src1_sel:DWORD
	v_fma_f16 v97, v180, v35, v8
	v_mul_f16_sdwa v8, v180, v35 dst_sel:DWORD dst_unused:UNUSED_PAD src0_sel:WORD_1 src1_sel:DWORD
	v_fma_f16 v98, v180, v6, -v8
	s_waitcnt lgkmcnt(0)
	v_lshrrev_b32_e32 v6, 16, v0
	v_mul_f16_sdwa v8, v181, v0 dst_sel:DWORD dst_unused:UNUSED_PAD src0_sel:WORD_1 src1_sel:DWORD
	v_fma_f16 v10, v181, v6, -v8
	v_mul_f16_sdwa v6, v181, v6 dst_sel:DWORD dst_unused:UNUSED_PAD src0_sel:WORD_1 src1_sel:DWORD
	v_fma_f16 v11, v181, v0, v6
	v_lshrrev_b32_e32 v0, 16, v1
	v_mul_f16_sdwa v6, v163, v0 dst_sel:DWORD dst_unused:UNUSED_PAD src0_sel:WORD_1 src1_sel:DWORD
	v_fma_f16 v95, v163, v1, v6
	v_mul_f16_sdwa v1, v163, v1 dst_sel:DWORD dst_unused:UNUSED_PAD src0_sel:WORD_1 src1_sel:DWORD
	v_fma_f16 v96, v163, v0, -v1
	ds_read2_b32 v[0:1], v182 offset0:168 offset1:217
	v_add_f16_e32 v244, v39, v3
	v_add_f16_e32 v243, v4, v84
	v_sub_f16_e32 v242, v4, v84
	v_add_f16_e32 v247, v38, v2
	s_waitcnt lgkmcnt(0)
	v_lshrrev_b32_e32 v6, 16, v0
	v_mul_f16_sdwa v8, v162, v0 dst_sel:DWORD dst_unused:UNUSED_PAD src0_sel:WORD_1 src1_sel:DWORD
	v_fma_f16 v8, v162, v6, -v8
	v_mul_f16_sdwa v6, v162, v6 dst_sel:DWORD dst_unused:UNUSED_PAD src0_sel:WORD_1 src1_sel:DWORD
	v_fma_f16 v9, v162, v0, v6
	v_lshrrev_b32_e32 v0, 16, v1
	v_mul_f16_sdwa v6, v166, v0 dst_sel:DWORD dst_unused:UNUSED_PAD src0_sel:WORD_1 src1_sel:DWORD
	v_fma_f16 v34, v166, v1, v6
	v_mul_f16_sdwa v1, v166, v1 dst_sel:DWORD dst_unused:UNUSED_PAD src0_sel:WORD_1 src1_sel:DWORD
	v_fma_f16 v35, v166, v0, -v1
	ds_read_b32 v0, v134 offset:9408
	v_sub_f16_e32 v246, v38, v2
	v_add_f16_e32 v2, v80, v82
	v_sub_f16_e32 v245, v39, v3
	v_sub_f16_e32 v3, v82, v80
	s_waitcnt lgkmcnt(0)
	v_lshrrev_b32_e32 v1, 16, v0
	v_mul_f16_sdwa v6, v167, v1 dst_sel:DWORD dst_unused:UNUSED_PAD src0_sel:WORD_1 src1_sel:DWORD
	v_fma_f16 v136, v167, v0, v6
	v_mul_f16_sdwa v0, v167, v0 dst_sel:DWORD dst_unused:UNUSED_PAD src0_sel:WORD_1 src1_sel:DWORD
	v_add_f16_e32 v6, v5, v7
	v_fma_f16 v135, v167, v1, -v0
	v_add_f16_e32 v0, v81, v83
	v_add_f16_e32 v4, v244, v6
	;; [unrolled: 1-line block ×4, first 2 shown]
	v_sub_f16_e32 v7, v5, v7
	v_add_f16_e32 v39, v2, v4
	ds_read2_b32 v[4:5], v134 offset1:49
	v_sub_f16_e32 v1, v83, v81
	v_sub_f16_e32 v197, v0, v244
	;; [unrolled: 1-line block ×4, first 2 shown]
	s_waitcnt lgkmcnt(0)
	v_add_f16_e32 v80, v38, v4
	v_add_f16_sdwa v4, v39, v4 dst_sel:DWORD dst_unused:UNUSED_PAD src0_sel:DWORD src1_sel:WORD_1
	v_fma_f16 v248, v38, s6, v80
	v_sub_f16_e32 v38, v6, v0
	v_lshlrev_b32_e32 v81, 16, v4
	v_sub_f16_e32 v0, v243, v2
	v_mul_f16_e32 v226, 0x3a52, v38
	v_or_b32_e32 v137, v81, v80
	v_fma_f16 v4, v39, s6, v4
	v_sub_f16_e32 v80, v2, v247
	v_sub_f16_e32 v39, v1, v245
	v_mul_f16_e32 v224, 0x3a52, v0
	v_fma_f16 v0, v197, s12, v226
	v_add_f16_e32 v2, v1, v245
	v_sub_f16_e32 v81, v3, v246
	v_mul_f16_e32 v225, 0x3846, v39
	v_add_f16_e32 v252, v0, v248
	v_fma_f16 v0, v80, s12, v224
	v_add_f16_e32 v1, v3, v246
	v_add_f16_e32 v250, v2, v7
	v_mul_f16_e32 v218, 0x3846, v81
	v_add_f16_e32 v253, v0, v4
	v_fma_f16 v0, v254, s0, v225
	v_add_f16_e32 v249, v1, v242
	v_fma_f16 v198, v250, s2, v0
	v_fma_f16 v0, v255, s0, v218
	;; [unrolled: 1-line block ×3, first 2 shown]
	v_add_f16_e32 v0, v221, v252
	v_sub_f16_e32 v1, v253, v198
	v_pack_b32_f16 v38, v0, v1
	v_sub_f16_e32 v7, v245, v7
	v_sub_f16_e32 v39, v246, v242
	ds_read2_b32 v[0:1], v134 offset0:98 offset1:147
	ds_read2_b32 v[2:3], v134 offset0:196 offset1:245
	s_waitcnt lgkmcnt(0)
	; wave barrier
	s_waitcnt lgkmcnt(0)
	ds_write2_b32 v206, v137, v38 offset1:7
	v_sub_f16_e32 v6, v244, v6
	v_sub_f16_e32 v38, v247, v243
	v_mul_f16_e32 v81, 0x2b26, v197
	v_mul_f16_e32 v80, 0x2b26, v80
	v_fma_f16 v82, v7, s3, -v225
	v_mul_f16_e32 v7, 0x3b00, v7
	v_fma_f16 v83, v39, s3, -v218
	;; [unrolled: 2-line block ×3, first 2 shown]
	v_fma_f16 v6, v6, s1, -v226
	v_fma_f16 v80, v38, s13, -v80
	;; [unrolled: 1-line block ×3, first 2 shown]
	v_fma_f16 v7, v254, s7, v7
	v_fma_f16 v39, v255, s7, v39
	v_add_f16_e32 v6, v6, v248
	v_add_f16_e32 v80, v80, v4
	;; [unrolled: 1-line block ×3, first 2 shown]
	v_fma_f16 v7, v250, s2, v7
	v_fma_f16 v39, v249, s2, v39
	v_add_f16_e32 v81, v81, v248
	v_fma_f16 v38, v250, s2, v82
	v_fma_f16 v82, v249, s2, v83
	v_add_f16_e32 v83, v39, v6
	v_sub_f16_e32 v84, v4, v7
	v_pack_b32_f16 v83, v83, v84
	v_sub_f16_e32 v84, v81, v82
	v_add_f16_e32 v85, v38, v80
	v_add_f16_e32 v81, v82, v81
	v_sub_f16_e32 v38, v80, v38
	v_sub_f16_e32 v6, v6, v39
	v_add_f16_e32 v4, v7, v4
	v_pack_b32_f16 v7, v81, v38
	v_pack_b32_f16 v4, v6, v4
	ds_write2_b32 v206, v7, v4 offset0:28 offset1:35
	v_sub_f16_e32 v4, v252, v221
	v_add_f16_e32 v6, v198, v253
	v_pack_b32_f16 v4, v4, v6
	v_pack_b32_f16 v84, v84, v85
	ds_write_b32 v206, v4 offset:168
	v_add_f16_e32 v4, v231, v239
	v_add_f16_e32 v7, v229, v240
	;; [unrolled: 1-line block ×4, first 2 shown]
	ds_write2_b32 v206, v83, v84 offset0:14 offset1:21
	v_add_f16_e32 v83, v230, v208
	v_add_f16_e32 v85, v214, v210
	;; [unrolled: 1-line block ×6, first 2 shown]
	v_sub_f16_e32 v80, v204, v241
	v_sub_f16_e32 v82, v205, v238
	;; [unrolled: 1-line block ×4, first 2 shown]
	v_add_f16_e32 v91, v87, v5
	v_add_f16_sdwa v5, v88, v5 dst_sel:DWORD dst_unused:UNUSED_PAD src0_sel:DWORD src1_sel:WORD_1
	v_sub_f16_e32 v6, v231, v239
	v_sub_f16_e32 v38, v229, v240
	v_lshlrev_b32_e32 v92, 16, v5
	v_add_f16_e32 v93, v84, v80
	v_sub_f16_e32 v94, v84, v80
	v_add_f16_e32 v137, v86, v82
	v_sub_f16_e32 v138, v86, v82
	v_or_b32_e32 v92, v92, v91
	v_fma_f16 v87, v87, s6, v91
	v_fma_f16 v5, v88, s6, v5
	v_sub_f16_e32 v88, v4, v83
	v_sub_f16_e32 v83, v83, v39
	;; [unrolled: 1-line block ×6, first 2 shown]
	v_add_f16_e32 v93, v93, v6
	v_add_f16_e32 v137, v137, v38
	v_mul_f16_e32 v94, 0x3846, v94
	v_mul_f16_e32 v138, 0x3846, v138
	v_sub_f16_e32 v6, v80, v6
	v_sub_f16_e32 v38, v82, v38
	v_mul_f16_e32 v88, 0x3a52, v88
	v_mul_f16_e32 v91, 0x3a52, v91
	v_sub_f16_e32 v4, v39, v4
	v_sub_f16_e32 v7, v81, v7
	v_mul_f16_e32 v39, 0x2b26, v83
	v_mul_f16_e32 v80, 0x2b26, v85
	v_fma_f16 v81, v6, s3, -v94
	v_mul_f16_e32 v6, 0x3b00, v6
	v_fma_f16 v82, v38, s3, -v138
	v_mul_f16_e32 v38, 0x3b00, v38
	v_fma_f16 v140, v85, s12, v91
	v_fma_f16 v39, v4, s13, -v39
	v_fma_f16 v4, v4, s1, -v88
	;; [unrolled: 1-line block ×4, first 2 shown]
	v_fma_f16 v6, v84, s7, v6
	v_fma_f16 v38, v86, s7, v38
	v_add_f16_e32 v140, v140, v5
	v_add_f16_e32 v4, v4, v87
	;; [unrolled: 1-line block ×4, first 2 shown]
	v_fma_f16 v6, v93, s2, v6
	v_fma_f16 v38, v137, s2, v38
	;; [unrolled: 1-line block ×3, first 2 shown]
	v_add_f16_e32 v39, v39, v87
	v_fma_f16 v7, v93, s2, v81
	v_fma_f16 v81, v137, s2, v82
	v_add_f16_e32 v82, v38, v4
	v_sub_f16_e32 v83, v5, v6
	v_fma_f16 v141, v84, s0, v94
	v_fma_f16 v142, v86, s0, v138
	v_pack_b32_f16 v82, v82, v83
	v_sub_f16_e32 v83, v39, v81
	v_add_f16_e32 v84, v7, v80
	v_add_f16_e32 v39, v81, v39
	v_sub_f16_e32 v7, v80, v7
	v_sub_f16_e32 v4, v4, v38
	v_add_f16_e32 v5, v6, v5
	v_add_f16_e32 v139, v139, v87
	v_fma_f16 v141, v93, s2, v141
	v_fma_f16 v142, v137, s2, v142
	v_pack_b32_f16 v6, v39, v7
	v_pack_b32_f16 v4, v4, v5
	ds_write2_b32 v209, v6, v4 offset0:28 offset1:35
	v_sub_f16_e32 v4, v139, v142
	v_add_f16_e32 v5, v141, v140
	v_pack_b32_f16 v4, v4, v5
	v_pack_b32_f16 v83, v83, v84
	ds_write_b32 v209, v4 offset:168
	v_add_f16_e32 v4, v130, v237
	v_add_f16_e32 v6, v131, v236
	;; [unrolled: 1-line block ×4, first 2 shown]
	ds_write2_b32 v209, v82, v83 offset0:14 offset1:21
	v_add_f16_e32 v82, v132, v203
	v_add_f16_e32 v84, v133, v201
	;; [unrolled: 1-line block ×5, first 2 shown]
	v_sub_f16_e32 v144, v140, v141
	v_add_f16_e32 v86, v82, v86
	v_add_f16_e32 v87, v84, v87
	v_pack_b32_f16 v143, v143, v144
	v_sub_f16_e32 v39, v202, v234
	v_sub_f16_e32 v81, v200, v235
	;; [unrolled: 1-line block ×4, first 2 shown]
	v_add_f16_e32 v88, v86, v0
	v_add_f16_sdwa v0, v87, v0 dst_sel:DWORD dst_unused:UNUSED_PAD src0_sel:DWORD src1_sel:WORD_1
	ds_write2_b32 v209, v92, v143 offset1:7
	v_sub_f16_e32 v5, v130, v237
	v_sub_f16_e32 v7, v131, v236
	v_lshlrev_b32_e32 v91, 16, v0
	v_add_f16_e32 v92, v83, v39
	v_sub_f16_e32 v93, v83, v39
	v_add_f16_e32 v94, v85, v81
	v_sub_f16_e32 v130, v85, v81
	v_or_b32_e32 v91, v91, v88
	v_fma_f16 v86, v86, s6, v88
	v_fma_f16 v0, v87, s6, v0
	v_sub_f16_e32 v87, v4, v82
	v_sub_f16_e32 v82, v82, v38
	v_sub_f16_e32 v88, v6, v84
	v_sub_f16_e32 v84, v84, v80
	v_sub_f16_e32 v83, v5, v83
	v_sub_f16_e32 v85, v7, v85
	v_add_f16_e32 v92, v92, v5
	v_add_f16_e32 v94, v94, v7
	v_mul_f16_e32 v93, 0x3846, v93
	v_mul_f16_e32 v130, 0x3846, v130
	v_sub_f16_e32 v5, v39, v5
	v_sub_f16_e32 v7, v81, v7
	v_mul_f16_e32 v87, 0x3a52, v87
	v_mul_f16_e32 v88, 0x3a52, v88
	v_sub_f16_e32 v4, v38, v4
	v_sub_f16_e32 v6, v80, v6
	v_mul_f16_e32 v38, 0x2b26, v82
	v_mul_f16_e32 v39, 0x2b26, v84
	v_fma_f16 v80, v5, s3, -v93
	v_mul_f16_e32 v5, 0x3b00, v5
	v_fma_f16 v81, v7, s3, -v130
	v_mul_f16_e32 v7, 0x3b00, v7
	v_fma_f16 v132, v84, s12, v88
	v_fma_f16 v38, v4, s13, -v38
	v_fma_f16 v4, v4, s1, -v87
	;; [unrolled: 1-line block ×4, first 2 shown]
	v_fma_f16 v5, v83, s7, v5
	v_fma_f16 v7, v85, s7, v7
	v_add_f16_e32 v132, v132, v0
	v_add_f16_e32 v4, v4, v86
	;; [unrolled: 1-line block ×4, first 2 shown]
	v_fma_f16 v5, v92, s2, v5
	v_fma_f16 v7, v94, s2, v7
	;; [unrolled: 1-line block ×3, first 2 shown]
	v_add_f16_e32 v38, v38, v86
	v_fma_f16 v6, v92, s2, v80
	v_fma_f16 v80, v94, s2, v81
	v_add_f16_e32 v81, v7, v4
	v_sub_f16_e32 v82, v0, v5
	v_fma_f16 v133, v83, s0, v93
	v_fma_f16 v137, v85, s0, v130
	v_pack_b32_f16 v81, v81, v82
	v_sub_f16_e32 v82, v38, v80
	v_add_f16_e32 v83, v6, v39
	v_add_f16_e32 v38, v80, v38
	v_sub_f16_e32 v6, v39, v6
	v_sub_f16_e32 v4, v4, v7
	v_add_f16_e32 v0, v5, v0
	v_add_f16_e32 v131, v131, v86
	v_fma_f16 v133, v92, s2, v133
	v_fma_f16 v137, v94, s2, v137
	v_pack_b32_f16 v5, v38, v6
	v_pack_b32_f16 v0, v4, v0
	ds_write2_b32 v191, v5, v0 offset0:28 offset1:35
	v_sub_f16_e32 v0, v131, v137
	v_add_f16_e32 v4, v133, v132
	v_pack_b32_f16 v0, v0, v4
	v_pack_b32_f16 v82, v82, v83
	ds_write_b32 v191, v0 offset:168
	v_add_f16_e32 v0, v129, v37
	v_add_f16_e32 v5, v127, v232
	;; [unrolled: 1-line block ×4, first 2 shown]
	ds_write2_b32 v191, v81, v82 offset0:14 offset1:21
	v_add_f16_e32 v39, v128, v124
	v_add_f16_e32 v81, v126, v125
	;; [unrolled: 1-line block ×5, first 2 shown]
	v_sub_f16_e32 v139, v132, v133
	v_add_f16_e32 v83, v39, v83
	v_add_f16_e32 v84, v81, v84
	v_pack_b32_f16 v138, v138, v139
	v_sub_f16_e32 v4, v129, v37
	v_sub_f16_e32 v37, v90, v233
	;; [unrolled: 1-line block ×5, first 2 shown]
	v_add_f16_e32 v85, v83, v1
	v_add_f16_sdwa v1, v84, v1 dst_sel:DWORD dst_unused:UNUSED_PAD src0_sel:DWORD src1_sel:WORD_1
	ds_write2_b32 v191, v91, v138 offset1:7
	v_sub_f16_e32 v6, v127, v232
	v_lshlrev_b32_e32 v86, 16, v1
	v_add_f16_e32 v87, v80, v37
	v_sub_f16_e32 v88, v80, v37
	v_add_f16_e32 v90, v82, v36
	v_sub_f16_e32 v91, v82, v36
	v_or_b32_e32 v86, v86, v85
	v_fma_f16 v83, v83, s6, v85
	v_fma_f16 v1, v84, s6, v1
	v_sub_f16_e32 v84, v0, v39
	v_sub_f16_e32 v39, v39, v7
	;; [unrolled: 1-line block ×6, first 2 shown]
	v_add_f16_e32 v87, v87, v4
	v_add_f16_e32 v90, v90, v6
	v_mul_f16_e32 v88, 0x3846, v88
	v_mul_f16_e32 v91, 0x3846, v91
	v_sub_f16_e32 v4, v37, v4
	v_sub_f16_e32 v6, v36, v6
	v_mul_f16_e32 v84, 0x3a52, v84
	v_mul_f16_e32 v85, 0x3a52, v85
	v_sub_f16_e32 v0, v7, v0
	v_sub_f16_e32 v5, v38, v5
	v_mul_f16_e32 v7, 0x2b26, v39
	v_mul_f16_e32 v36, 0x2b26, v81
	v_fma_f16 v37, v4, s3, -v88
	v_mul_f16_e32 v4, 0x3b00, v4
	v_fma_f16 v38, v6, s3, -v91
	v_mul_f16_e32 v6, 0x3b00, v6
	v_fma_f16 v93, v81, s12, v85
	v_fma_f16 v7, v0, s13, -v7
	v_fma_f16 v0, v0, s1, -v84
	;; [unrolled: 1-line block ×4, first 2 shown]
	v_fma_f16 v4, v80, s7, v4
	v_fma_f16 v6, v82, s7, v6
	v_add_f16_e32 v93, v93, v1
	v_add_f16_e32 v0, v0, v83
	;; [unrolled: 1-line block ×4, first 2 shown]
	v_fma_f16 v4, v87, s2, v4
	v_fma_f16 v6, v90, s2, v6
	;; [unrolled: 1-line block ×3, first 2 shown]
	v_add_f16_e32 v7, v7, v83
	v_fma_f16 v5, v87, s2, v37
	v_fma_f16 v37, v90, s2, v38
	v_add_f16_e32 v38, v6, v0
	v_sub_f16_e32 v39, v1, v4
	v_fma_f16 v94, v80, s0, v88
	v_fma_f16 v123, v82, s0, v91
	v_pack_b32_f16 v38, v38, v39
	v_sub_f16_e32 v39, v7, v37
	v_add_f16_e32 v80, v5, v36
	v_add_f16_e32 v7, v37, v7
	v_sub_f16_e32 v5, v36, v5
	v_sub_f16_e32 v0, v0, v6
	v_add_f16_e32 v1, v4, v1
	v_add_f16_e32 v92, v92, v83
	v_fma_f16 v94, v87, s2, v94
	v_fma_f16 v123, v90, s2, v123
	v_pack_b32_f16 v4, v7, v5
	v_pack_b32_f16 v0, v0, v1
	ds_write2_b32 v192, v4, v0 offset0:28 offset1:35
	v_sub_f16_e32 v0, v92, v123
	v_add_f16_e32 v1, v94, v93
	v_pack_b32_f16 v0, v0, v1
	ds_write_b32 v192, v0 offset:168
	v_add_f16_e32 v0, v30, v11
	v_add_f16_e32 v4, v31, v10
	v_sub_f16_e32 v5, v31, v10
	v_add_f16_e32 v6, v42, v97
	v_add_f16_e32 v10, v40, v98
	v_sub_f16_e32 v1, v30, v11
	v_add_f16_e32 v30, v32, v43
	v_sub_f16_e32 v31, v43, v32
	v_add_f16_e32 v32, v33, v41
	v_add_f16_e32 v36, v6, v0
	;; [unrolled: 1-line block ×3, first 2 shown]
	v_pack_b32_f16 v39, v39, v80
	v_add_f16_e32 v36, v30, v36
	v_add_f16_e32 v37, v32, v37
	ds_write2_b32 v192, v38, v39 offset0:14 offset1:21
	v_sub_f16_e32 v7, v42, v97
	v_sub_f16_e32 v11, v40, v98
	;; [unrolled: 1-line block ×3, first 2 shown]
	v_add_f16_e32 v38, v36, v2
	v_add_f16_sdwa v2, v37, v2 dst_sel:DWORD dst_unused:UNUSED_PAD src0_sel:DWORD src1_sel:WORD_1
	v_lshlrev_b32_e32 v39, 16, v2
	v_add_f16_e32 v40, v31, v7
	v_sub_f16_e32 v41, v31, v7
	v_add_f16_e32 v42, v33, v11
	v_sub_f16_e32 v43, v33, v11
	v_or_b32_e32 v39, v39, v38
	v_fma_f16 v36, v36, s6, v38
	v_fma_f16 v2, v37, s6, v2
	v_sub_f16_e32 v37, v0, v30
	v_sub_f16_e32 v30, v30, v6
	v_sub_f16_e32 v38, v4, v32
	v_sub_f16_e32 v32, v32, v10
	v_sub_f16_e32 v31, v1, v31
	v_sub_f16_e32 v33, v5, v33
	v_add_f16_e32 v40, v40, v1
	v_add_f16_e32 v42, v42, v5
	v_mul_f16_e32 v41, 0x3846, v41
	v_mul_f16_e32 v43, 0x3846, v43
	v_sub_f16_e32 v1, v7, v1
	v_sub_f16_e32 v5, v11, v5
	v_mul_f16_e32 v37, 0x3a52, v37
	v_mul_f16_e32 v38, 0x3a52, v38
	v_sub_f16_e32 v0, v6, v0
	v_sub_f16_e32 v4, v10, v4
	v_mul_f16_e32 v6, 0x2b26, v30
	v_mul_f16_e32 v7, 0x2b26, v32
	v_fma_f16 v10, v1, s3, -v41
	v_mul_f16_e32 v1, 0x3b00, v1
	v_fma_f16 v11, v5, s3, -v43
	v_mul_f16_e32 v5, 0x3b00, v5
	v_fma_f16 v81, v32, s12, v38
	v_fma_f16 v6, v0, s13, -v6
	v_fma_f16 v0, v0, s1, -v37
	v_fma_f16 v7, v4, s13, -v7
	v_fma_f16 v4, v4, s1, -v38
	v_fma_f16 v1, v31, s7, v1
	v_fma_f16 v5, v33, s7, v5
	v_add_f16_e32 v81, v81, v2
	v_add_f16_e32 v0, v0, v36
	;; [unrolled: 1-line block ×4, first 2 shown]
	v_fma_f16 v1, v40, s2, v1
	v_fma_f16 v5, v42, s2, v5
	;; [unrolled: 1-line block ×3, first 2 shown]
	v_add_f16_e32 v6, v6, v36
	v_fma_f16 v4, v40, s2, v10
	v_fma_f16 v10, v42, s2, v11
	v_add_f16_e32 v11, v5, v0
	v_sub_f16_e32 v30, v2, v1
	v_add_f16_e32 v124, v123, v92
	v_sub_f16_e32 v125, v93, v94
	v_fma_f16 v82, v31, s0, v41
	v_fma_f16 v83, v33, s0, v43
	v_pack_b32_f16 v11, v11, v30
	v_sub_f16_e32 v30, v6, v10
	v_add_f16_e32 v31, v4, v7
	v_add_f16_e32 v6, v10, v6
	v_sub_f16_e32 v4, v7, v4
	v_sub_f16_e32 v0, v0, v5
	v_add_f16_e32 v1, v1, v2
	v_pack_b32_f16 v124, v124, v125
	v_add_f16_e32 v80, v80, v36
	v_fma_f16 v82, v40, s2, v82
	v_fma_f16 v83, v42, s2, v83
	v_pack_b32_f16 v2, v6, v4
	v_pack_b32_f16 v0, v0, v1
	ds_write2_b32 v192, v86, v124 offset1:7
	ds_write2_b32 v193, v2, v0 offset0:28 offset1:35
	v_sub_f16_e32 v0, v80, v83
	v_add_f16_e32 v1, v82, v81
	v_pack_b32_f16 v0, v0, v1
	v_pack_b32_f16 v30, v30, v31
	ds_write_b32 v193, v0 offset:168
	v_add_f16_e32 v0, v29, v95
	v_add_f16_e32 v2, v28, v96
	;; [unrolled: 1-line block ×4, first 2 shown]
	ds_write2_b32 v193, v11, v30 offset0:14 offset1:21
	v_sub_f16_e32 v6, v24, v9
	v_add_f16_e32 v9, v22, v26
	v_sub_f16_e32 v10, v26, v22
	v_add_f16_e32 v11, v27, v23
	;; [unrolled: 2-line block ×3, first 2 shown]
	v_add_f16_e32 v24, v7, v2
	v_add_f16_e32 v23, v9, v23
	;; [unrolled: 1-line block ×3, first 2 shown]
	v_sub_f16_e32 v8, v25, v8
	v_add_f16_e32 v25, v23, v3
	v_add_f16_sdwa v3, v24, v3 dst_sel:DWORD dst_unused:UNUSED_PAD src0_sel:DWORD src1_sel:WORD_1
	v_sub_f16_e32 v1, v29, v95
	v_sub_f16_e32 v4, v28, v96
	v_lshlrev_b32_e32 v26, 16, v3
	v_add_f16_e32 v27, v10, v6
	v_sub_f16_e32 v28, v10, v6
	v_add_f16_e32 v29, v22, v8
	v_sub_f16_e32 v30, v22, v8
	v_or_b32_e32 v26, v26, v25
	v_fma_f16 v23, v23, s6, v25
	v_fma_f16 v3, v24, s6, v3
	v_sub_f16_e32 v24, v0, v9
	v_sub_f16_e32 v9, v9, v5
	;; [unrolled: 1-line block ×6, first 2 shown]
	v_add_f16_e32 v27, v27, v1
	v_add_f16_e32 v29, v29, v4
	v_mul_f16_e32 v28, 0x3846, v28
	v_mul_f16_e32 v30, 0x3846, v30
	v_sub_f16_e32 v1, v6, v1
	v_sub_f16_e32 v4, v8, v4
	v_mul_f16_e32 v24, 0x3a52, v24
	v_mul_f16_e32 v25, 0x3a52, v25
	v_sub_f16_e32 v0, v5, v0
	v_sub_f16_e32 v2, v7, v2
	v_mul_f16_e32 v5, 0x2b26, v9
	v_mul_f16_e32 v6, 0x2b26, v11
	v_fma_f16 v7, v1, s3, -v28
	v_mul_f16_e32 v1, 0x3b00, v1
	v_fma_f16 v8, v4, s3, -v30
	v_mul_f16_e32 v4, 0x3b00, v4
	v_fma_f16 v5, v0, s13, -v5
	v_fma_f16 v0, v0, s1, -v24
	v_fma_f16 v6, v2, s13, -v6
	;; [unrolled: 1-line block ×3, first 2 shown]
	v_fma_f16 v1, v10, s7, v1
	v_fma_f16 v4, v22, s7, v4
	;; [unrolled: 1-line block ×3, first 2 shown]
	v_add_f16_e32 v0, v0, v23
	v_add_f16_e32 v2, v2, v3
	v_fma_f16 v1, v27, s2, v1
	v_fma_f16 v4, v29, s2, v4
	;; [unrolled: 1-line block ×3, first 2 shown]
	v_add_f16_e32 v32, v32, v3
	v_add_f16_e32 v5, v5, v23
	;; [unrolled: 1-line block ×3, first 2 shown]
	v_fma_f16 v3, v27, s2, v7
	v_fma_f16 v7, v29, s2, v8
	v_add_f16_e32 v8, v4, v0
	v_sub_f16_e32 v9, v2, v1
	v_add_f16_e32 v84, v83, v80
	v_sub_f16_e32 v85, v81, v82
	v_fma_f16 v33, v10, s0, v28
	v_fma_f16 v36, v22, s0, v30
	v_pack_b32_f16 v8, v8, v9
	v_sub_f16_e32 v9, v5, v7
	v_add_f16_e32 v10, v3, v6
	v_add_f16_e32 v5, v7, v5
	v_sub_f16_e32 v3, v6, v3
	v_sub_f16_e32 v0, v0, v4
	v_add_f16_e32 v1, v1, v2
	v_pack_b32_f16 v84, v84, v85
	v_add_f16_e32 v31, v31, v23
	v_fma_f16 v33, v27, s2, v33
	v_fma_f16 v36, v29, s2, v36
	v_pack_b32_f16 v2, v5, v3
	v_pack_b32_f16 v0, v0, v1
	ds_write2_b32 v193, v39, v84 offset1:7
	ds_write2_b32 v190, v2, v0 offset0:28 offset1:35
	v_sub_f16_e32 v0, v31, v36
	v_add_f16_e32 v1, v33, v32
	v_pack_b32_f16 v0, v0, v1
	v_add_f16_e32 v2, v251, v135
	v_add_f16_e32 v6, v17, v35
	v_pack_b32_f16 v9, v9, v10
	ds_write_b32 v190, v0 offset:168
	v_add_f16_e32 v0, v227, v136
	v_add_f16_e32 v4, v16, v34
	v_sub_f16_e32 v7, v17, v35
	v_add_f16_e32 v10, v18, v21
	v_add_f16_e32 v17, v6, v2
	ds_write2_b32 v190, v8, v9 offset0:14 offset1:21
	v_sub_f16_e32 v5, v16, v34
	v_add_f16_e32 v8, v20, v19
	v_add_f16_e32 v16, v4, v0
	;; [unrolled: 1-line block ×3, first 2 shown]
	v_sub_f16_e32 v9, v19, v20
	v_sub_f16_e32 v11, v21, v18
	v_add_f16_e32 v16, v8, v16
	v_add_f16_sdwa v19, v17, v89 dst_sel:DWORD dst_unused:UNUSED_PAD src0_sel:DWORD src1_sel:WORD_1
	v_sub_f16_e32 v1, v227, v136
	v_sub_f16_e32 v3, v251, v135
	v_add_f16_e32 v18, v16, v89
	v_lshlrev_b32_e32 v20, 16, v19
	v_add_f16_e32 v21, v9, v5
	v_sub_f16_e32 v22, v9, v5
	v_add_f16_e32 v23, v11, v7
	v_sub_f16_e32 v24, v11, v7
	v_or_b32_e32 v20, v20, v18
	v_fma_f16 v16, v16, s6, v18
	v_fma_f16 v17, v17, s6, v19
	v_sub_f16_e32 v18, v0, v8
	v_sub_f16_e32 v8, v8, v4
	;; [unrolled: 1-line block ×6, first 2 shown]
	v_add_f16_e32 v21, v21, v1
	v_add_f16_e32 v23, v23, v3
	v_mul_f16_e32 v22, 0x3846, v22
	v_mul_f16_e32 v24, 0x3846, v24
	v_sub_f16_e32 v1, v5, v1
	v_sub_f16_e32 v3, v7, v3
	v_mul_f16_e32 v18, 0x3a52, v18
	v_mul_f16_e32 v19, 0x3a52, v19
	v_sub_f16_e32 v0, v4, v0
	v_sub_f16_e32 v2, v6, v2
	v_mul_f16_e32 v4, 0x2b26, v8
	v_mul_f16_e32 v5, 0x2b26, v10
	v_fma_f16 v6, v1, s3, -v22
	v_mul_f16_e32 v1, 0x3b00, v1
	v_fma_f16 v7, v3, s3, -v24
	;; [unrolled: 2-line block ×3, first 2 shown]
	v_fma_f16 v0, v0, s1, -v18
	v_fma_f16 v5, v2, s13, -v5
	v_fma_f16 v2, v2, s1, -v19
	v_fma_f16 v1, v9, s7, v1
	v_fma_f16 v3, v11, s7, v3
	v_add_f16_e32 v37, v36, v31
	v_sub_f16_e32 v38, v32, v33
	v_add_f16_e32 v0, v0, v16
	v_add_f16_e32 v2, v2, v17
	v_fma_f16 v1, v21, s2, v1
	v_fma_f16 v3, v23, s2, v3
	v_pack_b32_f16 v37, v37, v38
	v_fma_f16 v25, v8, s12, v18
	v_fma_f16 v27, v9, s0, v22
	v_add_f16_e32 v4, v4, v16
	v_add_f16_e32 v5, v5, v17
	v_fma_f16 v6, v21, s2, v6
	v_fma_f16 v7, v23, s2, v7
	v_add_f16_e32 v8, v3, v0
	v_sub_f16_e32 v9, v2, v1
	ds_write2_b32 v190, v26, v37 offset1:7
	v_fma_f16 v26, v10, s12, v19
	v_fma_f16 v28, v11, s0, v24
	v_pack_b32_f16 v8, v8, v9
	v_sub_f16_e32 v9, v4, v7
	v_add_f16_e32 v10, v6, v5
	v_add_f16_e32 v4, v7, v4
	v_sub_f16_e32 v5, v5, v6
	v_sub_f16_e32 v0, v0, v3
	v_add_f16_e32 v1, v1, v2
	v_add_f16_e32 v25, v25, v16
	;; [unrolled: 1-line block ×3, first 2 shown]
	v_fma_f16 v27, v21, s2, v27
	v_fma_f16 v28, v23, s2, v28
	v_pack_b32_f16 v2, v4, v5
	v_pack_b32_f16 v0, v0, v1
	v_add_f16_e32 v29, v28, v25
	v_sub_f16_e32 v30, v26, v27
	ds_write2_b32 v217, v2, v0 offset0:28 offset1:35
	v_sub_f16_e32 v0, v25, v28
	v_add_f16_e32 v1, v27, v26
	v_pack_b32_f16 v29, v29, v30
	v_pack_b32_f16 v9, v9, v10
	;; [unrolled: 1-line block ×3, first 2 shown]
	ds_write2_b32 v217, v20, v29 offset1:7
	ds_write2_b32 v217, v8, v9 offset0:14 offset1:21
	ds_write_b32 v217, v0 offset:168
	s_waitcnt lgkmcnt(0)
	; wave barrier
	s_waitcnt lgkmcnt(0)
	ds_read2_b32 v[0:1], v185 offset0:174 offset1:223
	ds_read2_b32 v[31:32], v183 offset0:10 offset1:59
	s_waitcnt lgkmcnt(1)
	v_lshrrev_b32_e32 v2, 16, v0
	v_mul_f16_sdwa v3, v13, v0 dst_sel:DWORD dst_unused:UNUSED_PAD src0_sel:WORD_1 src1_sel:DWORD
	v_fma_f16 v80, v13, v2, -v3
	v_mul_f16_sdwa v2, v13, v2 dst_sel:DWORD dst_unused:UNUSED_PAD src0_sel:WORD_1 src1_sel:DWORD
	v_fma_f16 v83, v13, v0, v2
	ds_read2_b32 v[2:3], v188 offset0:92 offset1:141
	v_lshrrev_b32_e32 v0, 16, v1
	v_mul_f16_sdwa v4, v13, v0 dst_sel:DWORD dst_unused:UNUSED_PAD src0_sel:WORD_1 src1_sel:DWORD
	v_fma_f16 v90, v13, v1, v4
	v_mul_f16_sdwa v1, v13, v1 dst_sel:DWORD dst_unused:UNUSED_PAD src0_sel:WORD_1 src1_sel:DWORD
	v_fma_f16 v6, v13, v0, -v1
	s_waitcnt lgkmcnt(0)
	v_lshrrev_b32_e32 v0, 16, v2
	v_mul_f16_sdwa v1, v15, v2 dst_sel:DWORD dst_unused:UNUSED_PAD src0_sel:WORD_1 src1_sel:DWORD
	v_fma_f16 v93, v15, v0, -v1
	v_mul_f16_sdwa v0, v15, v0 dst_sel:DWORD dst_unused:UNUSED_PAD src0_sel:WORD_1 src1_sel:DWORD
	v_fma_f16 v94, v15, v2, v0
	ds_read2_b32 v[0:1], v194 offset0:38 offset1:87
	v_lshrrev_b32_e32 v2, 16, v3
	v_mul_f16_sdwa v4, v15, v2 dst_sel:DWORD dst_unused:UNUSED_PAD src0_sel:WORD_1 src1_sel:DWORD
	v_fma_f16 v95, v15, v3, v4
	v_mul_f16_sdwa v3, v15, v3 dst_sel:DWORD dst_unused:UNUSED_PAD src0_sel:WORD_1 src1_sel:DWORD
	v_fma_f16 v96, v15, v2, -v3
	s_waitcnt lgkmcnt(0)
	v_lshrrev_b32_e32 v4, 16, v1
	ds_read2_b32 v[2:3], v158 offset0:84 offset1:133
	v_mul_f16_sdwa v5, v12, v1 dst_sel:DWORD dst_unused:UNUSED_PAD src0_sel:WORD_1 src1_sel:DWORD
	v_fma_f16 v81, v12, v4, -v5
	v_mul_f16_sdwa v4, v12, v4 dst_sel:DWORD dst_unused:UNUSED_PAD src0_sel:WORD_1 src1_sel:DWORD
	v_fma_f16 v11, v12, v1, v4
	ds_read2_b32 v[4:5], v194 offset0:136 offset1:185
	ds_read2_b32 v[15:16], v187 offset0:54 offset1:103
	s_waitcnt lgkmcnt(2)
	v_lshrrev_b32_e32 v1, 16, v3
	v_mul_f16_sdwa v7, v14, v3 dst_sel:DWORD dst_unused:UNUSED_PAD src0_sel:WORD_1 src1_sel:DWORD
	v_fma_f16 v127, v14, v1, -v7
	v_mul_f16_sdwa v1, v14, v1 dst_sel:DWORD dst_unused:UNUSED_PAD src0_sel:WORD_1 src1_sel:DWORD
	v_fma_f16 v128, v14, v3, v1
	s_waitcnt lgkmcnt(1)
	v_lshrrev_b32_e32 v1, 16, v4
	v_mul_f16_sdwa v3, v12, v4 dst_sel:DWORD dst_unused:UNUSED_PAD src0_sel:WORD_1 src1_sel:DWORD
	v_fma_f16 v97, v12, v1, -v3
	v_mul_f16_sdwa v1, v12, v1 dst_sel:DWORD dst_unused:UNUSED_PAD src0_sel:WORD_1 src1_sel:DWORD
	v_fma_f16 v91, v12, v4, v1
	;; [unrolled: 6-line block ×3, first 2 shown]
	v_lshrrev_b32_e32 v1, 16, v5
	v_mul_f16_sdwa v3, v56, v1 dst_sel:DWORD dst_unused:UNUSED_PAD src0_sel:WORD_1 src1_sel:DWORD
	ds_read2_b32 v[12:13], v184 offset0:16 offset1:65
	v_fma_f16 v4, v56, v5, v3
	v_mul_f16_sdwa v3, v56, v5 dst_sel:DWORD dst_unused:UNUSED_PAD src0_sel:WORD_1 src1_sel:DWORD
	v_fma_f16 v5, v56, v1, -v3
	v_lshrrev_b32_e32 v1, 16, v16
	ds_read2_b32 v[14:15], v188 offset0:190 offset1:239
	v_mul_f16_sdwa v3, v58, v1 dst_sel:DWORD dst_unused:UNUSED_PAD src0_sel:WORD_1 src1_sel:DWORD
	v_fma_f16 v89, v58, v16, v3
	v_mul_f16_sdwa v3, v58, v16 dst_sel:DWORD dst_unused:UNUSED_PAD src0_sel:WORD_1 src1_sel:DWORD
	v_fma_f16 v58, v58, v1, -v3
	s_waitcnt lgkmcnt(1)
	v_lshrrev_b32_e32 v1, 16, v12
	v_mul_f16_sdwa v3, v57, v12 dst_sel:DWORD dst_unused:UNUSED_PAD src0_sel:WORD_1 src1_sel:DWORD
	v_fma_f16 v7, v57, v1, -v3
	v_mul_f16_sdwa v1, v57, v1 dst_sel:DWORD dst_unused:UNUSED_PAD src0_sel:WORD_1 src1_sel:DWORD
	v_fma_f16 v88, v57, v12, v1
	s_waitcnt lgkmcnt(0)
	v_lshrrev_b32_e32 v1, 16, v14
	v_mul_f16_sdwa v3, v59, v14 dst_sel:DWORD dst_unused:UNUSED_PAD src0_sel:WORD_1 src1_sel:DWORD
	v_fma_f16 v87, v59, v1, -v3
	v_mul_f16_sdwa v1, v59, v1 dst_sel:DWORD dst_unused:UNUSED_PAD src0_sel:WORD_1 src1_sel:DWORD
	v_fma_f16 v59, v59, v14, v1
	v_lshrrev_b32_e32 v1, 16, v13
	v_mul_f16_sdwa v3, v53, v1 dst_sel:DWORD dst_unused:UNUSED_PAD src0_sel:WORD_1 src1_sel:DWORD
	v_fma_f16 v42, v53, v13, v3
	v_mul_f16_sdwa v3, v53, v13 dst_sel:DWORD dst_unused:UNUSED_PAD src0_sel:WORD_1 src1_sel:DWORD
	v_fma_f16 v43, v53, v1, -v3
	v_lshrrev_b32_e32 v1, 16, v15
	ds_read2_b32 v[12:13], v213 offset0:106 offset1:155
	v_mul_f16_sdwa v3, v55, v1 dst_sel:DWORD dst_unused:UNUSED_PAD src0_sel:WORD_1 src1_sel:DWORD
	v_fma_f16 v53, v55, v15, v3
	v_mul_f16_sdwa v3, v55, v15 dst_sel:DWORD dst_unused:UNUSED_PAD src0_sel:WORD_1 src1_sel:DWORD
	ds_read2_b32 v[14:15], v187 offset0:152 offset1:201
	v_fma_f16 v55, v55, v1, -v3
	s_waitcnt lgkmcnt(1)
	v_lshrrev_b32_e32 v1, 16, v12
	v_mul_f16_sdwa v3, v52, v12 dst_sel:DWORD dst_unused:UNUSED_PAD src0_sel:WORD_1 src1_sel:DWORD
	v_fma_f16 v56, v52, v1, -v3
	v_mul_f16_sdwa v1, v52, v1 dst_sel:DWORD dst_unused:UNUSED_PAD src0_sel:WORD_1 src1_sel:DWORD
	v_fma_f16 v57, v52, v12, v1
	s_waitcnt lgkmcnt(0)
	v_lshrrev_b32_e32 v1, 16, v14
	v_mul_f16_sdwa v3, v54, v14 dst_sel:DWORD dst_unused:UNUSED_PAD src0_sel:WORD_1 src1_sel:DWORD
	v_fma_f16 v52, v54, v1, -v3
	v_mul_f16_sdwa v1, v54, v1 dst_sel:DWORD dst_unused:UNUSED_PAD src0_sel:WORD_1 src1_sel:DWORD
	v_fma_f16 v54, v54, v14, v1
	v_lshrrev_b32_e32 v1, 16, v13
	v_mul_f16_sdwa v3, v48, v1 dst_sel:DWORD dst_unused:UNUSED_PAD src0_sel:WORD_1 src1_sel:DWORD
	v_fma_f16 v27, v48, v13, v3
	v_mul_f16_sdwa v3, v48, v13 dst_sel:DWORD dst_unused:UNUSED_PAD src0_sel:WORD_1 src1_sel:DWORD
	v_fma_f16 v28, v48, v1, -v3
	v_lshrrev_b32_e32 v1, 16, v15
	ds_read2_b32 v[12:13], v184 offset0:114 offset1:163
	v_mul_f16_sdwa v3, v50, v1 dst_sel:DWORD dst_unused:UNUSED_PAD src0_sel:WORD_1 src1_sel:DWORD
	v_fma_f16 v29, v50, v15, v3
	v_mul_f16_sdwa v3, v50, v15 dst_sel:DWORD dst_unused:UNUSED_PAD src0_sel:WORD_1 src1_sel:DWORD
	ds_read2_b32 v[14:15], v186 offset0:32 offset1:81
	;; [unrolled: 24-line block ×3, first 2 shown]
	v_fma_f16 v22, v47, v1, -v3
	s_waitcnt lgkmcnt(1)
	v_lshrrev_b32_e32 v1, 16, v12
	v_mul_f16_sdwa v3, v44, v12 dst_sel:DWORD dst_unused:UNUSED_PAD src0_sel:WORD_1 src1_sel:DWORD
	v_fma_f16 v24, v44, v1, -v3
	v_mul_f16_sdwa v1, v44, v1 dst_sel:DWORD dst_unused:UNUSED_PAD src0_sel:WORD_1 src1_sel:DWORD
	v_fma_f16 v26, v44, v12, v1
	s_waitcnt lgkmcnt(0)
	v_lshrrev_b32_e32 v1, 16, v15
	v_mul_f16_sdwa v3, v46, v15 dst_sel:DWORD dst_unused:UNUSED_PAD src0_sel:WORD_1 src1_sel:DWORD
	v_fma_f16 v23, v46, v1, -v3
	v_mul_f16_sdwa v1, v46, v1 dst_sel:DWORD dst_unused:UNUSED_PAD src0_sel:WORD_1 src1_sel:DWORD
	v_fma_f16 v25, v46, v15, v1
	v_lshrrev_b32_e32 v1, 16, v13
	v_mul_f16_sdwa v8, v99, v13 dst_sel:DWORD dst_unused:UNUSED_PAD src0_sel:WORD_1 src1_sel:DWORD
	v_mul_f16_sdwa v3, v99, v1 dst_sel:DWORD dst_unused:UNUSED_PAD src0_sel:WORD_1 src1_sel:DWORD
	v_fma_f16 v12, v99, v1, -v8
	v_lshrrev_b32_e32 v1, 16, v2
	v_mul_f16_sdwa v8, v100, v1 dst_sel:DWORD dst_unused:UNUSED_PAD src0_sel:WORD_1 src1_sel:DWORD
	v_fma_f16 v3, v99, v13, v3
	v_fma_f16 v13, v100, v2, v8
	v_mul_f16_sdwa v2, v100, v2 dst_sel:DWORD dst_unused:UNUSED_PAD src0_sel:WORD_1 src1_sel:DWORD
	v_fma_f16 v14, v100, v1, -v2
	ds_read2_b32 v[1:2], v186 offset0:130 offset1:179
	v_lshrrev_b32_e32 v8, 16, v16
	v_mul_f16_sdwa v9, v101, v8 dst_sel:DWORD dst_unused:UNUSED_PAD src0_sel:WORD_1 src1_sel:DWORD
	v_fma_f16 v15, v101, v16, v9
	v_mul_f16_sdwa v9, v101, v16 dst_sel:DWORD dst_unused:UNUSED_PAD src0_sel:WORD_1 src1_sel:DWORD
	v_fma_f16 v16, v101, v8, -v9
	s_waitcnt lgkmcnt(0)
	v_lshrrev_b32_e32 v8, 16, v1
	v_mul_f16_sdwa v9, v102, v1 dst_sel:DWORD dst_unused:UNUSED_PAD src0_sel:WORD_1 src1_sel:DWORD
	v_fma_f16 v17, v102, v8, -v9
	v_mul_f16_sdwa v8, v102, v8 dst_sel:DWORD dst_unused:UNUSED_PAD src0_sel:WORD_1 src1_sel:DWORD
	v_fma_f16 v18, v102, v1, v8
	v_lshrrev_b32_e32 v1, 16, v2
	v_mul_f16_sdwa v8, v211, v1 dst_sel:DWORD dst_unused:UNUSED_PAD src0_sel:WORD_1 src1_sel:DWORD
	v_fma_f16 v84, v211, v2, v8
	v_mul_f16_sdwa v2, v211, v2 dst_sel:DWORD dst_unused:UNUSED_PAD src0_sel:WORD_1 src1_sel:DWORD
	v_fma_f16 v99, v211, v1, -v2
	v_lshrrev_b32_e32 v1, 16, v31
	v_mul_f16_sdwa v2, v212, v31 dst_sel:DWORD dst_unused:UNUSED_PAD src0_sel:WORD_1 src1_sel:DWORD
	v_fma_f16 v82, v212, v1, -v2
	v_mul_f16_sdwa v1, v212, v1 dst_sel:DWORD dst_unused:UNUSED_PAD src0_sel:WORD_1 src1_sel:DWORD
	v_fma_f16 v85, v212, v31, v1
	ds_read2_b32 v[1:2], v189 offset0:100 offset1:149
	v_lshrrev_b32_e32 v8, 16, v32
	v_mul_f16_sdwa v9, v212, v8 dst_sel:DWORD dst_unused:UNUSED_PAD src0_sel:WORD_1 src1_sel:DWORD
	v_fma_f16 v123, v212, v32, v9
	v_mul_f16_sdwa v9, v212, v32 dst_sel:DWORD dst_unused:UNUSED_PAD src0_sel:WORD_1 src1_sel:DWORD
	v_fma_f16 v124, v212, v8, -v9
	s_waitcnt lgkmcnt(0)
	v_lshrrev_b32_e32 v8, 16, v1
	v_mul_f16_sdwa v9, v211, v1 dst_sel:DWORD dst_unused:UNUSED_PAD src0_sel:WORD_1 src1_sel:DWORD
	ds_read2_b32 v[31:32], v183 offset0:108 offset1:157
	v_fma_f16 v125, v211, v8, -v9
	v_mul_f16_sdwa v8, v211, v8 dst_sel:DWORD dst_unused:UNUSED_PAD src0_sel:WORD_1 src1_sel:DWORD
	v_fma_f16 v126, v211, v1, v8
	v_lshrrev_b32_e32 v1, 16, v2
	v_mul_f16_sdwa v8, v111, v1 dst_sel:DWORD dst_unused:UNUSED_PAD src0_sel:WORD_1 src1_sel:DWORD
	v_fma_f16 v9, v111, v2, v8
	v_mul_f16_sdwa v2, v111, v2 dst_sel:DWORD dst_unused:UNUSED_PAD src0_sel:WORD_1 src1_sel:DWORD
	v_fma_f16 v101, v111, v1, -v2
	s_waitcnt lgkmcnt(0)
	v_lshrrev_b32_e32 v1, 16, v31
	v_mul_f16_sdwa v2, v112, v31 dst_sel:DWORD dst_unused:UNUSED_PAD src0_sel:WORD_1 src1_sel:DWORD
	v_fma_f16 v102, v112, v1, -v2
	v_mul_f16_sdwa v1, v112, v1 dst_sel:DWORD dst_unused:UNUSED_PAD src0_sel:WORD_1 src1_sel:DWORD
	v_fma_f16 v111, v112, v31, v1
	ds_read2_b32 v[1:2], v182 offset0:70 offset1:119
	v_lshrrev_b32_e32 v8, 16, v32
	v_mul_f16_sdwa v10, v165, v8 dst_sel:DWORD dst_unused:UNUSED_PAD src0_sel:WORD_1 src1_sel:DWORD
	v_fma_f16 v50, v165, v32, v10
	v_mul_f16_sdwa v10, v165, v32 dst_sel:DWORD dst_unused:UNUSED_PAD src0_sel:WORD_1 src1_sel:DWORD
	v_fma_f16 v51, v165, v8, -v10
	s_waitcnt lgkmcnt(0)
	v_lshrrev_b32_e32 v8, 16, v1
	v_mul_f16_sdwa v10, v164, v1 dst_sel:DWORD dst_unused:UNUSED_PAD src0_sel:WORD_1 src1_sel:DWORD
	ds_read2_b32 v[31:32], v183 offset0:206 offset1:255
	v_fma_f16 v49, v164, v8, -v10
	v_mul_f16_sdwa v8, v164, v8 dst_sel:DWORD dst_unused:UNUSED_PAD src0_sel:WORD_1 src1_sel:DWORD
	v_fma_f16 v8, v164, v1, v8
	v_lshrrev_b32_e32 v1, 16, v2
	v_mul_f16_sdwa v10, v168, v1 dst_sel:DWORD dst_unused:UNUSED_PAD src0_sel:WORD_1 src1_sel:DWORD
	v_fma_f16 v45, v168, v2, v10
	v_mul_f16_sdwa v2, v168, v2 dst_sel:DWORD dst_unused:UNUSED_PAD src0_sel:WORD_1 src1_sel:DWORD
	v_fma_f16 v46, v168, v1, -v2
	s_waitcnt lgkmcnt(0)
	v_lshrrev_b32_e32 v1, 16, v31
	v_mul_f16_sdwa v2, v169, v31 dst_sel:DWORD dst_unused:UNUSED_PAD src0_sel:WORD_1 src1_sel:DWORD
	v_fma_f16 v47, v169, v1, -v2
	v_mul_f16_sdwa v1, v169, v1 dst_sel:DWORD dst_unused:UNUSED_PAD src0_sel:WORD_1 src1_sel:DWORD
	v_fma_f16 v48, v169, v31, v1
	ds_read2_b32 v[1:2], v182 offset0:168 offset1:217
	v_lshrrev_b32_e32 v10, 16, v32
	v_mul_f16_sdwa v31, v173, v10 dst_sel:DWORD dst_unused:UNUSED_PAD src0_sel:WORD_1 src1_sel:DWORD
	v_fma_f16 v38, v173, v32, v31
	v_mul_f16_sdwa v31, v173, v32 dst_sel:DWORD dst_unused:UNUSED_PAD src0_sel:WORD_1 src1_sel:DWORD
	v_fma_f16 v39, v173, v10, -v31
	s_waitcnt lgkmcnt(0)
	v_lshrrev_b32_e32 v10, 16, v1
	v_mul_f16_sdwa v31, v172, v1 dst_sel:DWORD dst_unused:UNUSED_PAD src0_sel:WORD_1 src1_sel:DWORD
	v_fma_f16 v37, v172, v10, -v31
	v_mul_f16_sdwa v10, v172, v10 dst_sel:DWORD dst_unused:UNUSED_PAD src0_sel:WORD_1 src1_sel:DWORD
	v_fma_f16 v44, v172, v1, v10
	ds_read_b32 v10, v134 offset:9408
	v_lshrrev_b32_e32 v1, 16, v2
	v_mul_f16_sdwa v31, v215, v1 dst_sel:DWORD dst_unused:UNUSED_PAD src0_sel:WORD_1 src1_sel:DWORD
	v_fma_f16 v31, v215, v2, v31
	v_mul_f16_sdwa v2, v215, v2 dst_sel:DWORD dst_unused:UNUSED_PAD src0_sel:WORD_1 src1_sel:DWORD
	v_fma_f16 v32, v215, v1, -v2
	s_waitcnt lgkmcnt(0)
	v_lshrrev_b32_e32 v1, 16, v10
	v_mul_f16_sdwa v2, v216, v1 dst_sel:DWORD dst_unused:UNUSED_PAD src0_sel:WORD_1 src1_sel:DWORD
	v_fma_f16 v35, v216, v10, v2
	v_mul_f16_sdwa v2, v216, v10 dst_sel:DWORD dst_unused:UNUSED_PAD src0_sel:WORD_1 src1_sel:DWORD
	v_fma_f16 v36, v216, v1, -v2
	ds_read2_b32 v[1:2], v134 offset1:49
	v_add_f16_e32 v10, v11, v85
	v_sub_f16_e32 v11, v11, v85
	v_add_f16_e32 v86, v81, v82
	v_sub_f16_e32 v81, v81, v82
	v_add_f16_e32 v82, v83, v84
	v_add_f16_e32 v85, v80, v99
	v_sub_f16_e32 v83, v83, v84
	v_sub_f16_e32 v84, v80, v99
	v_add_f16_e32 v80, v128, v94
	v_add_f16_e32 v99, v127, v93
	;; [unrolled: 1-line block ×4, first 2 shown]
	v_sub_f16_e32 v93, v93, v127
	v_add_f16_e32 v100, v80, v100
	v_add_f16_e32 v127, v99, v112
	s_waitcnt lgkmcnt(0)
	v_add_f16_e32 v112, v100, v1
	v_add_f16_sdwa v1, v127, v1 dst_sel:DWORD dst_unused:UNUSED_PAD src0_sel:DWORD src1_sel:WORD_1
	v_sub_f16_e32 v94, v94, v128
	v_lshlrev_b32_e32 v128, 16, v1
	v_or_b32_e32 v129, v128, v112
	v_fma_f16 v112, v100, s6, v112
	v_sub_f16_e32 v100, v10, v80
	v_sub_f16_e32 v197, v80, v82
	;; [unrolled: 1-line block ×3, first 2 shown]
	v_mul_f16_e32 v204, 0x3a52, v100
	v_sub_f16_e32 v80, v99, v85
	v_add_f16_e32 v99, v94, v83
	v_sub_f16_e32 v131, v94, v83
	v_sub_f16_e32 v132, v11, v94
	v_add_f16_e32 v94, v93, v84
	v_sub_f16_e32 v135, v93, v84
	v_sub_f16_e32 v133, v81, v93
	v_mul_f16_e32 v202, 0x3a52, v130
	v_fma_f16 v93, v197, s12, v204
	v_fma_f16 v1, v127, s6, v1
	v_mul_f16_e32 v203, 0x3846, v131
	v_add_f16_e32 v130, v93, v112
	v_fma_f16 v93, v80, s12, v202
	v_add_f16_e32 v128, v99, v11
	v_add_f16_e32 v127, v94, v81
	v_mul_f16_e32 v201, 0x3846, v135
	v_add_f16_e32 v131, v93, v1
	v_fma_f16 v93, v132, s0, v203
	v_sub_f16_e32 v11, v83, v11
	v_sub_f16_e32 v81, v84, v81
	v_fma_f16 v198, v128, s2, v93
	v_fma_f16 v93, v133, s0, v201
	v_sub_f16_e32 v10, v82, v10
	v_sub_f16_e32 v82, v85, v86
	v_mul_f16_e32 v83, 0x2b26, v197
	v_mul_f16_e32 v80, 0x2b26, v80
	v_fma_f16 v84, v11, s3, -v203
	v_mul_f16_e32 v11, 0x3b00, v11
	v_fma_f16 v85, v81, s3, -v201
	v_mul_f16_e32 v81, 0x3b00, v81
	v_fma_f16 v200, v127, s2, v93
	v_fma_f16 v83, v10, s13, -v83
	v_fma_f16 v10, v10, s1, -v204
	;; [unrolled: 1-line block ×4, first 2 shown]
	v_fma_f16 v11, v132, s7, v11
	v_fma_f16 v81, v133, s7, v81
	v_add_f16_e32 v93, v200, v130
	v_sub_f16_e32 v94, v131, v198
	v_add_f16_e32 v10, v10, v112
	v_add_f16_e32 v80, v80, v1
	;; [unrolled: 1-line block ×3, first 2 shown]
	v_fma_f16 v11, v128, s2, v11
	v_fma_f16 v81, v127, s2, v81
	v_pack_b32_f16 v93, v93, v94
	v_add_f16_e32 v83, v83, v112
	v_fma_f16 v82, v128, s2, v84
	v_fma_f16 v84, v127, s2, v85
	v_add_f16_e32 v85, v81, v10
	v_sub_f16_e32 v86, v1, v11
	ds_read2_b32 v[135:136], v134 offset0:98 offset1:147
	ds_read2_b32 v[205:206], v134 offset0:196 offset1:245
	s_waitcnt lgkmcnt(0)
	; wave barrier
	s_waitcnt lgkmcnt(0)
	ds_write2_b32 v134, v129, v93 offset1:49
	v_pack_b32_f16 v85, v85, v86
	v_sub_f16_e32 v86, v83, v84
	v_add_f16_e32 v93, v82, v80
	v_add_f16_e32 v83, v84, v83
	v_sub_f16_e32 v80, v80, v82
	v_sub_f16_e32 v10, v10, v81
	v_add_f16_e32 v1, v11, v1
	v_pack_b32_f16 v11, v83, v80
	v_pack_b32_f16 v1, v10, v1
	v_pack_b32_f16 v86, v86, v93
	ds_write2_b32 v134, v11, v1 offset0:196 offset1:245
	v_add_f16_e32 v11, v91, v123
	v_add_f16_e32 v80, v90, v126
	;; [unrolled: 1-line block ×4, first 2 shown]
	ds_write2_b32 v134, v85, v86 offset0:98 offset1:147
	v_add_f16_e32 v81, v92, v95
	v_add_f16_e32 v82, v80, v11
	;; [unrolled: 1-line block ×6, first 2 shown]
	v_sub_f16_e32 v1, v130, v200
	v_add_f16_e32 v10, v198, v131
	v_add_f16_e32 v93, v82, v2
	v_add_f16_sdwa v2, v86, v2 dst_sel:DWORD dst_unused:UNUSED_PAD src0_sel:DWORD src1_sel:WORD_1
	v_pack_b32_f16 v1, v1, v10
	v_lshlrev_b32_e32 v10, 16, v2
	v_or_b32_e32 v10, v10, v93
	ds_write2_b32 v194, v1, v10 offset0:38 offset1:87
	v_sub_f16_e32 v1, v91, v123
	v_sub_f16_e32 v90, v90, v126
	;; [unrolled: 1-line block ×11, first 2 shown]
	v_add_f16_e32 v85, v91, v90
	v_sub_f16_e32 v10, v97, v124
	v_sub_f16_e32 v95, v91, v90
	;; [unrolled: 1-line block ×4, first 2 shown]
	v_add_f16_e32 v1, v85, v1
	v_add_f16_e32 v85, v92, v6
	v_sub_f16_e32 v96, v92, v6
	v_mul_f16_e32 v11, 0x3a52, v11
	v_mul_f16_e32 v83, 0x3a52, v83
	v_sub_f16_e32 v92, v10, v92
	v_sub_f16_e32 v6, v6, v10
	v_add_f16_e32 v10, v85, v10
	v_fma_f16 v82, v82, s6, v93
	v_fma_f16 v2, v86, s6, v2
	v_mul_f16_e32 v85, 0x3846, v95
	v_mul_f16_e32 v86, 0x3846, v96
	;; [unrolled: 1-line block ×3, first 2 shown]
	v_fma_f16 v96, v80, s12, v11
	v_fma_f16 v97, v84, s12, v83
	v_mul_f16_e32 v80, 0x2b26, v80
	v_mul_f16_e32 v84, 0x2b26, v84
	v_fma_f16 v93, v91, s7, v93
	v_fma_f16 v91, v91, s0, v85
	v_mul_f16_e32 v95, 0x3b00, v6
	v_fma_f16 v83, v81, s1, -v83
	v_fma_f16 v80, v94, s13, -v80
	;; [unrolled: 1-line block ×5, first 2 shown]
	v_fma_f16 v95, v92, s7, v95
	v_fma_f16 v92, v92, s0, v86
	v_add_f16_e32 v97, v97, v2
	v_fma_f16 v91, v1, s2, v91
	v_add_f16_e32 v83, v83, v2
	;; [unrolled: 2-line block ×3, first 2 shown]
	v_add_f16_e32 v2, v81, v2
	v_fma_f16 v1, v1, s2, v84
	v_fma_f16 v6, v10, s2, v6
	;; [unrolled: 1-line block ×3, first 2 shown]
	v_fma_f16 v11, v94, s1, -v11
	v_fma_f16 v95, v10, s2, v95
	v_sub_f16_e32 v10, v80, v6
	v_add_f16_e32 v6, v6, v80
	v_add_f16_e32 v80, v1, v2
	v_sub_f16_e32 v1, v2, v1
	v_add_f16_e32 v96, v96, v82
	v_add_f16_e32 v11, v11, v82
	v_pack_b32_f16 v2, v10, v80
	v_pack_b32_f16 v1, v6, v1
	ds_write2_b32 v213, v2, v1 offset0:106 offset1:155
	v_sub_f16_e32 v1, v11, v95
	v_add_f16_e32 v2, v93, v83
	v_sub_f16_e32 v6, v96, v92
	v_add_f16_e32 v10, v91, v97
	v_pack_b32_f16 v1, v1, v2
	v_pack_b32_f16 v2, v6, v10
	ds_write2_b32 v185, v1, v2 offset0:76 offset1:125
	v_add_f16_e32 v1, v4, v111
	v_sub_f16_e32 v2, v4, v111
	v_add_f16_e32 v4, v5, v102
	v_add_f16_e32 v10, v7, v101
	v_add_f16_e32 v98, v92, v96
	v_sub_f16_e32 v99, v97, v91
	v_add_f16_e32 v6, v88, v9
	v_add_f16_e32 v80, v58, v87
	;; [unrolled: 1-line block ×3, first 2 shown]
	v_pack_b32_f16 v98, v98, v99
	v_add_f16_e32 v99, v95, v11
	v_add_f16_e32 v11, v89, v59
	;; [unrolled: 1-line block ×4, first 2 shown]
	v_sub_f16_e32 v9, v88, v9
	v_sub_f16_e32 v7, v7, v101
	;; [unrolled: 1-line block ×4, first 2 shown]
	v_add_f16_e32 v81, v11, v81
	v_add_f16_sdwa v84, v82, v135 dst_sel:DWORD dst_unused:UNUSED_PAD src0_sel:DWORD src1_sel:WORD_1
	v_sub_f16_e32 v100, v83, v93
	v_sub_f16_e32 v5, v5, v102
	v_add_f16_e32 v83, v81, v135
	v_lshlrev_b32_e32 v85, 16, v84
	v_add_f16_e32 v86, v59, v9
	v_sub_f16_e32 v87, v59, v9
	v_add_f16_e32 v88, v58, v7
	v_sub_f16_e32 v89, v58, v7
	v_or_b32_e32 v85, v85, v83
	v_fma_f16 v81, v81, s6, v83
	v_fma_f16 v82, v82, s6, v84
	v_sub_f16_e32 v83, v1, v11
	v_sub_f16_e32 v11, v11, v6
	;; [unrolled: 1-line block ×6, first 2 shown]
	v_add_f16_e32 v86, v86, v2
	v_add_f16_e32 v88, v88, v5
	v_mul_f16_e32 v87, 0x3846, v87
	v_mul_f16_e32 v89, 0x3846, v89
	v_sub_f16_e32 v2, v9, v2
	v_sub_f16_e32 v5, v7, v5
	v_mul_f16_e32 v83, 0x3a52, v83
	v_mul_f16_e32 v84, 0x3a52, v84
	v_sub_f16_e32 v1, v6, v1
	v_sub_f16_e32 v4, v10, v4
	v_mul_f16_e32 v6, 0x2b26, v11
	v_mul_f16_e32 v7, 0x2b26, v80
	v_fma_f16 v9, v2, s3, -v87
	v_mul_f16_e32 v2, 0x3b00, v2
	v_fma_f16 v10, v5, s3, -v89
	;; [unrolled: 2-line block ×3, first 2 shown]
	v_fma_f16 v1, v1, s1, -v83
	v_fma_f16 v7, v4, s13, -v7
	;; [unrolled: 1-line block ×3, first 2 shown]
	v_fma_f16 v2, v59, s7, v2
	v_fma_f16 v5, v58, s7, v5
	v_add_f16_e32 v1, v1, v81
	v_add_f16_e32 v4, v4, v82
	v_fma_f16 v2, v86, s2, v2
	v_fma_f16 v5, v88, s2, v5
	;; [unrolled: 1-line block ×4, first 2 shown]
	v_add_f16_e32 v6, v6, v81
	v_add_f16_e32 v7, v7, v82
	v_fma_f16 v9, v86, s2, v9
	v_fma_f16 v10, v88, s2, v10
	v_add_f16_e32 v11, v5, v1
	v_sub_f16_e32 v58, v4, v2
	v_fma_f16 v92, v59, s0, v87
	v_pack_b32_f16 v11, v11, v58
	v_sub_f16_e32 v58, v6, v10
	v_add_f16_e32 v59, v9, v7
	v_pack_b32_f16 v58, v58, v59
	buffer_load_dword v59, off, s[20:23], 0 offset:192 ; 4-byte Folded Reload
	v_add_f16_e32 v6, v10, v6
	v_sub_f16_e32 v7, v7, v9
	v_sub_f16_e32 v1, v1, v5
	v_add_f16_e32 v2, v2, v4
	v_pack_b32_f16 v99, v99, v100
	v_pack_b32_f16 v4, v6, v7
	;; [unrolled: 1-line block ×3, first 2 shown]
	ds_write2_b32 v194, v98, v99 offset0:136 offset1:185
	v_add_f16_e32 v6, v42, v8
	v_sub_f16_e32 v7, v42, v8
	v_add_f16_e32 v8, v43, v49
	v_sub_f16_e32 v2, v57, v50
	;; [unrolled: 2-line block ×4, first 2 shown]
	v_sub_f16_e32 v5, v56, v51
	v_add_f16_e32 v90, v90, v81
	v_fma_f16 v91, v80, s12, v84
	v_add_f16_e32 v91, v91, v82
	v_fma_f16 v92, v86, s2, v92
	v_fma_f16 v93, v88, s2, v93
	v_add_f16_e32 v94, v93, v90
	v_sub_f16_e32 v95, v91, v92
	v_pack_b32_f16 v94, v94, v95
	buffer_load_dword v95, off, s[20:23], 0 offset:188 ; 4-byte Folded Reload
	s_waitcnt vmcnt(1)
	ds_write2_b32 v59, v4, v1 offset0:114 offset1:163
	v_add_f16_e32 v4, v56, v51
	v_add_f16_e32 v1, v57, v50
	;; [unrolled: 1-line block ×6, first 2 shown]
	v_add_f16_sdwa v52, v50, v136 dst_sel:DWORD dst_unused:UNUSED_PAD src0_sel:DWORD src1_sel:WORD_1
	ds_write2_b32 v59, v11, v58 offset0:16 offset1:65
	v_sub_f16_e32 v11, v53, v54
	v_add_f16_e32 v51, v49, v136
	v_lshlrev_b32_e32 v53, 16, v52
	v_or_b32_e32 v53, v53, v51
	v_fma_f16 v49, v49, s6, v51
	v_fma_f16 v50, v50, s6, v52
	v_sub_f16_e32 v51, v1, v10
	v_sub_f16_e32 v52, v4, v42
	;; [unrolled: 1-line block ×6, first 2 shown]
	v_add_f16_e32 v54, v11, v7
	v_sub_f16_e32 v11, v2, v11
	v_add_f16_e32 v56, v43, v9
	v_sub_f16_e32 v43, v5, v43
	v_mul_f16_e32 v51, 0x3a52, v51
	v_mul_f16_e32 v52, 0x3a52, v52
	;; [unrolled: 1-line block ×4, first 2 shown]
	v_add_f16_e32 v54, v54, v2
	v_add_f16_e32 v56, v56, v5
	v_fma_f16 v58, v10, s12, v51
	v_fma_f16 v59, v42, s12, v52
	v_fma_f16 v80, v11, s0, v55
	v_fma_f16 v81, v43, s0, v57
	v_add_f16_e32 v58, v58, v49
	v_add_f16_e32 v59, v59, v50
	v_fma_f16 v80, v54, s2, v80
	v_fma_f16 v81, v56, s2, v81
	v_add_f16_e32 v82, v81, v58
	v_sub_f16_e32 v83, v59, v80
	v_pack_b32_f16 v82, v82, v83
	buffer_load_dword v83, off, s[20:23], 0 offset:200 ; 4-byte Folded Reload
	v_sub_f16_e32 v2, v7, v2
	v_sub_f16_e32 v5, v9, v5
	;; [unrolled: 1-line block ×4, first 2 shown]
	v_mul_f16_e32 v6, 0x2b26, v10
	v_mul_f16_e32 v7, 0x2b26, v42
	v_fma_f16 v8, v2, s3, -v55
	v_mul_f16_e32 v2, 0x3b00, v2
	v_fma_f16 v9, v5, s3, -v57
	;; [unrolled: 2-line block ×3, first 2 shown]
	v_fma_f16 v1, v1, s1, -v51
	v_fma_f16 v7, v4, s13, -v7
	;; [unrolled: 1-line block ×3, first 2 shown]
	v_fma_f16 v2, v11, s7, v2
	v_fma_f16 v5, v43, s7, v5
	v_add_f16_e32 v1, v1, v49
	v_add_f16_e32 v4, v4, v50
	v_fma_f16 v2, v54, s2, v2
	v_fma_f16 v5, v56, s2, v5
	v_add_f16_e32 v6, v6, v49
	v_add_f16_e32 v7, v7, v50
	v_fma_f16 v8, v54, s2, v8
	v_fma_f16 v9, v56, s2, v9
	v_add_f16_e32 v10, v5, v1
	v_sub_f16_e32 v11, v4, v2
	v_pack_b32_f16 v10, v10, v11
	v_sub_f16_e32 v11, v6, v9
	v_add_f16_e32 v42, v8, v7
	v_add_f16_e32 v6, v9, v6
	v_sub_f16_e32 v7, v7, v8
	v_sub_f16_e32 v1, v1, v5
	v_add_f16_e32 v2, v2, v4
	v_pack_b32_f16 v4, v6, v7
	v_pack_b32_f16 v1, v1, v2
	v_add_f16_e32 v8, v33, v46
	v_pack_b32_f16 v11, v11, v42
	v_sub_f16_e32 v2, v27, v48
	v_sub_f16_e32 v5, v28, v47
	v_add_f16_e32 v6, v40, v45
	v_sub_f16_e32 v7, v40, v45
	v_sub_f16_e32 v9, v33, v46
	s_waitcnt vmcnt(1)
	ds_write2_b32 v95, v85, v94 offset0:174 offset1:223
	s_waitcnt vmcnt(0)
	ds_write2_b32 v83, v4, v1 offset0:201 offset1:250
	v_add_f16_e32 v4, v28, v47
	v_add_f16_e32 v1, v27, v48
	;; [unrolled: 1-line block ×3, first 2 shown]
	v_sub_f16_e32 v28, v34, v30
	v_add_f16_e32 v30, v8, v4
	ds_write2_b32 v83, v10, v11 offset0:103 offset1:152
	v_add_f16_e32 v10, v29, v41
	v_sub_f16_e32 v11, v41, v29
	v_add_f16_e32 v29, v6, v1
	v_add_f16_e32 v30, v27, v30
	;; [unrolled: 1-line block ×3, first 2 shown]
	v_add_f16_sdwa v34, v30, v205 dst_sel:DWORD dst_unused:UNUSED_PAD src0_sel:DWORD src1_sel:WORD_1
	v_add_f16_e32 v33, v29, v205
	v_lshlrev_b32_e32 v40, 16, v34
	v_add_f16_e32 v41, v11, v7
	v_sub_f16_e32 v42, v11, v7
	v_add_f16_e32 v43, v28, v9
	v_sub_f16_e32 v45, v28, v9
	v_or_b32_e32 v40, v40, v33
	v_fma_f16 v29, v29, s6, v33
	v_fma_f16 v30, v30, s6, v34
	v_sub_f16_e32 v33, v1, v10
	v_sub_f16_e32 v10, v10, v6
	;; [unrolled: 1-line block ×6, first 2 shown]
	v_add_f16_e32 v41, v41, v2
	v_add_f16_e32 v43, v43, v5
	v_mul_f16_e32 v42, 0x3846, v42
	v_mul_f16_e32 v45, 0x3846, v45
	v_sub_f16_e32 v2, v7, v2
	v_sub_f16_e32 v5, v9, v5
	v_mul_f16_e32 v33, 0x3a52, v33
	v_mul_f16_e32 v34, 0x3a52, v34
	v_sub_f16_e32 v1, v6, v1
	v_sub_f16_e32 v4, v8, v4
	v_mul_f16_e32 v6, 0x2b26, v10
	v_mul_f16_e32 v7, 0x2b26, v27
	v_fma_f16 v8, v2, s3, -v42
	v_mul_f16_e32 v2, 0x3b00, v2
	v_fma_f16 v9, v5, s3, -v45
	;; [unrolled: 2-line block ×3, first 2 shown]
	v_fma_f16 v1, v1, s1, -v33
	v_fma_f16 v7, v4, s13, -v7
	;; [unrolled: 1-line block ×3, first 2 shown]
	v_fma_f16 v2, v11, s7, v2
	v_fma_f16 v5, v28, s7, v5
	v_add_f16_e32 v1, v1, v29
	v_add_f16_e32 v4, v4, v30
	v_fma_f16 v2, v41, s2, v2
	v_fma_f16 v5, v43, s2, v5
	;; [unrolled: 1-line block ×6, first 2 shown]
	v_add_f16_e32 v10, v5, v1
	v_sub_f16_e32 v11, v4, v2
	v_sub_f16_e32 v1, v1, v5
	v_add_f16_e32 v2, v2, v4
	v_add_f16_e32 v46, v46, v29
	;; [unrolled: 1-line block ×3, first 2 shown]
	v_fma_f16 v48, v41, s2, v48
	v_fma_f16 v49, v43, s2, v49
	v_pack_b32_f16 v1, v1, v2
	buffer_load_dword v2, off, s[20:23], 0 offset:196 ; 4-byte Folded Reload
	v_add_f16_e32 v50, v49, v46
	v_sub_f16_e32 v51, v47, v48
	v_pack_b32_f16 v50, v50, v51
	buffer_load_dword v51, off, s[20:23], 0 offset:208 ; 4-byte Folded Reload
	v_add_f16_e32 v6, v6, v29
	v_add_f16_e32 v7, v7, v30
	v_fma_f16 v8, v41, s2, v8
	v_fma_f16 v9, v43, s2, v9
	v_pack_b32_f16 v10, v10, v11
	v_sub_f16_e32 v11, v6, v9
	v_add_f16_e32 v27, v8, v7
	v_add_f16_e32 v6, v9, v6
	v_sub_f16_e32 v7, v7, v8
	v_pack_b32_f16 v4, v6, v7
	v_add_f16_e32 v8, v20, v37
	v_pack_b32_f16 v11, v11, v27
	v_add_f16_e32 v6, v19, v44
	v_sub_f16_e32 v7, v19, v44
	v_sub_f16_e32 v9, v20, v37
	v_add_f16_e32 v19, v23, v22
	v_sub_f16_e32 v20, v22, v23
	v_sub_f16_e32 v5, v24, v39
	;; [unrolled: 3-line block ×3, first 2 shown]
	v_add_f16_e32 v28, v28, v5
	v_mul_f16_e32 v29, 0x3846, v29
	v_sub_f16_e32 v5, v9, v5
	v_fma_f16 v9, v5, s3, -v29
	v_mul_f16_e32 v5, 0x3b00, v5
	v_fma_f16 v5, v20, s7, v5
	v_fma_f16 v5, v28, s2, v5
	;; [unrolled: 1-line block ×5, first 2 shown]
	ds_write2_b32 v83, v53, v82 offset0:5 offset1:54
	s_waitcnt vmcnt(1)
	ds_write2_b32 v2, v4, v1 offset0:32 offset1:81
	v_add_f16_e32 v4, v24, v39
	v_add_f16_e32 v1, v26, v38
	;; [unrolled: 1-line block ×3, first 2 shown]
	s_waitcnt vmcnt(0)
	ds_write2_b32 v51, v10, v11 offset0:190 offset1:239
	v_add_f16_e32 v10, v25, v21
	v_sub_f16_e32 v11, v21, v25
	v_add_f16_e32 v21, v6, v1
	v_add_f16_e32 v22, v19, v22
	v_add_f16_e32 v21, v10, v21
	v_add_f16_sdwa v24, v22, v206 dst_sel:DWORD dst_unused:UNUSED_PAD src0_sel:DWORD src1_sel:WORD_1
	v_sub_f16_e32 v2, v26, v38
	v_add_f16_e32 v23, v21, v206
	v_lshlrev_b32_e32 v25, 16, v24
	v_add_f16_e32 v26, v11, v7
	v_sub_f16_e32 v27, v11, v7
	v_or_b32_e32 v25, v25, v23
	v_fma_f16 v21, v21, s6, v23
	v_fma_f16 v22, v22, s6, v24
	v_sub_f16_e32 v23, v1, v10
	v_sub_f16_e32 v10, v10, v6
	;; [unrolled: 1-line block ×5, first 2 shown]
	v_add_f16_e32 v26, v26, v2
	v_mul_f16_e32 v27, 0x3846, v27
	v_sub_f16_e32 v2, v7, v2
	v_mul_f16_e32 v23, 0x3a52, v23
	v_mul_f16_e32 v24, 0x3a52, v24
	v_sub_f16_e32 v1, v6, v1
	v_sub_f16_e32 v4, v8, v4
	v_mul_f16_e32 v6, 0x2b26, v10
	v_mul_f16_e32 v7, 0x2b26, v19
	v_fma_f16 v8, v2, s3, -v27
	v_mul_f16_e32 v2, 0x3b00, v2
	v_fma_f16 v6, v1, s13, -v6
	v_fma_f16 v1, v1, s1, -v23
	;; [unrolled: 1-line block ×4, first 2 shown]
	v_fma_f16 v2, v11, s7, v2
	v_add_f16_e32 v1, v1, v21
	v_add_f16_e32 v4, v4, v22
	v_fma_f16 v2, v26, s2, v2
	v_fma_f16 v30, v10, s12, v23
	;; [unrolled: 1-line block ×3, first 2 shown]
	v_add_f16_e32 v6, v6, v21
	v_add_f16_e32 v7, v7, v22
	v_fma_f16 v8, v26, s2, v8
	v_add_f16_e32 v10, v5, v1
	v_sub_f16_e32 v11, v4, v2
	v_fma_f16 v33, v19, s12, v24
	v_pack_b32_f16 v10, v10, v11
	v_sub_f16_e32 v11, v6, v9
	v_add_f16_e32 v19, v8, v7
	v_pack_b32_f16 v11, v11, v19
	buffer_load_dword v19, off, s[20:23], 0 offset:216 ; 4-byte Folded Reload
	v_add_f16_e32 v6, v9, v6
	v_sub_f16_e32 v7, v7, v8
	v_sub_f16_e32 v1, v1, v5
	v_add_f16_e32 v2, v2, v4
	v_pack_b32_f16 v4, v6, v7
	v_pack_b32_f16 v1, v1, v2
	v_add_f16_e32 v2, v92, v91
	v_add_f16_e32 v30, v30, v21
	;; [unrolled: 1-line block ×3, first 2 shown]
	v_fma_f16 v34, v26, s2, v34
	v_add_f16_e32 v5, v13, v31
	v_add_f16_e32 v7, v14, v32
	v_sub_f16_e32 v6, v13, v31
	v_sub_f16_e32 v8, v14, v32
	v_add_f16_e32 v9, v15, v18
	v_add_f16_e32 v38, v37, v30
	v_sub_f16_e32 v39, v33, v34
	v_pack_b32_f16 v38, v38, v39
	buffer_load_dword v39, off, s[20:23], 0 offset:212 ; 4-byte Folded Reload
	ds_write2_b32 v51, v40, v50 offset0:92 offset1:141
	s_waitcnt vmcnt(1)
	ds_write2_b32 v19, v4, v1 offset0:119 offset1:168
	v_sub_f16_e32 v1, v90, v93
	v_pack_b32_f16 v1, v1, v2
	buffer_load_dword v2, off, s[20:23], 0 offset:232 ; 4-byte Folded Reload
	ds_write2_b32 v19, v10, v11 offset0:21 offset1:70
	v_add_f16_e32 v11, v16, v17
	v_sub_f16_e32 v4, v12, v36
	v_sub_f16_e32 v10, v18, v15
	;; [unrolled: 1-line block ×3, first 2 shown]
	v_mul_f16_e32 v18, 0x3846, v18
	s_waitcnt vmcnt(1)
	ds_write2_b32 v39, v25, v38 offset0:179 offset1:228
	s_waitcnt vmcnt(0)
	ds_write_b32 v2, v1 offset:3920
	v_sub_f16_e32 v1, v58, v81
	v_add_f16_e32 v2, v80, v59
	v_pack_b32_f16 v1, v1, v2
	buffer_load_dword v2, off, s[20:23], 0 offset:228 ; 4-byte Folded Reload
	s_waitcnt vmcnt(0)
	ds_write_b32 v2, v1 offset:5292
	v_sub_f16_e32 v1, v46, v49
	v_add_f16_e32 v2, v48, v47
	v_pack_b32_f16 v1, v1, v2
	buffer_load_dword v2, off, s[20:23], 0 offset:224 ; 4-byte Folded Reload
	;; [unrolled: 6-line block ×3, first 2 shown]
	s_waitcnt vmcnt(0)
	ds_write_b32 v2, v1 offset:8036
	v_add_f16_e32 v1, v3, v35
	v_sub_f16_e32 v2, v3, v35
	v_add_f16_e32 v3, v12, v36
	v_add_f16_e32 v13, v5, v1
	;; [unrolled: 1-line block ×5, first 2 shown]
	v_sub_f16_e32 v12, v17, v16
	v_add_f16_e32 v15, v13, v0
	v_add_f16_sdwa v0, v14, v0 dst_sel:DWORD dst_unused:UNUSED_PAD src0_sel:DWORD src1_sel:WORD_1
	v_lshlrev_b32_e32 v16, 16, v0
	v_add_f16_e32 v17, v10, v6
	v_add_f16_e32 v19, v12, v8
	v_sub_f16_e32 v20, v12, v8
	v_or_b32_e32 v16, v16, v15
	v_fma_f16 v13, v13, s6, v15
	v_fma_f16 v0, v14, s6, v0
	v_sub_f16_e32 v14, v1, v9
	v_sub_f16_e32 v9, v9, v5
	;; [unrolled: 1-line block ×5, first 2 shown]
	v_add_f16_e32 v17, v17, v2
	v_sub_f16_e32 v12, v4, v12
	v_add_f16_e32 v19, v19, v4
	v_mul_f16_e32 v20, 0x3846, v20
	v_sub_f16_e32 v2, v6, v2
	v_sub_f16_e32 v4, v8, v4
	v_mul_f16_e32 v14, 0x3a52, v14
	v_mul_f16_e32 v15, 0x3a52, v15
	v_sub_f16_e32 v1, v5, v1
	v_sub_f16_e32 v3, v7, v3
	v_mul_f16_e32 v5, 0x2b26, v9
	v_mul_f16_e32 v6, 0x2b26, v11
	v_fma_f16 v7, v2, s3, -v18
	v_mul_f16_e32 v2, 0x3b00, v2
	v_fma_f16 v8, v4, s3, -v20
	v_mul_f16_e32 v4, 0x3b00, v4
	v_fma_f16 v22, v11, s12, v15
	v_fma_f16 v5, v1, s13, -v5
	v_fma_f16 v1, v1, s1, -v14
	;; [unrolled: 1-line block ×4, first 2 shown]
	v_fma_f16 v2, v10, s7, v2
	v_fma_f16 v4, v12, s7, v4
	v_add_f16_e32 v22, v22, v0
	v_add_f16_e32 v1, v1, v13
	;; [unrolled: 1-line block ×4, first 2 shown]
	v_fma_f16 v2, v17, s2, v2
	v_fma_f16 v4, v19, s2, v4
	;; [unrolled: 1-line block ×5, first 2 shown]
	v_add_f16_e32 v8, v4, v1
	v_sub_f16_e32 v9, v0, v2
	v_sub_f16_e32 v1, v1, v4
	v_add_f16_e32 v0, v2, v0
	v_pack_b32_f16 v0, v1, v0
	buffer_load_dword v1, off, s[20:23], 0 offset:204 ; 4-byte Folded Reload
	v_fma_f16 v23, v10, s0, v18
	v_fma_f16 v24, v12, s0, v20
	v_add_f16_e32 v5, v5, v13
	v_add_f16_e32 v21, v21, v13
	v_fma_f16 v23, v17, s2, v23
	v_fma_f16 v24, v19, s2, v24
	v_pack_b32_f16 v8, v8, v9
	v_sub_f16_e32 v9, v5, v7
	v_add_f16_e32 v10, v3, v6
	v_add_f16_e32 v5, v7, v5
	v_sub_f16_e32 v3, v6, v3
	v_add_f16_e32 v25, v24, v21
	v_sub_f16_e32 v26, v22, v23
	v_sub_f16_e32 v2, v21, v24
	v_add_f16_e32 v4, v23, v22
	v_pack_b32_f16 v3, v5, v3
	v_pack_b32_f16 v25, v25, v26
	;; [unrolled: 1-line block ×3, first 2 shown]
	ds_write2_b32 v223, v3, v0 offset0:206 offset1:255
	v_pack_b32_f16 v0, v2, v4
	ds_write2_b32 v223, v16, v25 offset0:10 offset1:59
	ds_write2_b32 v223, v8, v9 offset0:108 offset1:157
	s_waitcnt vmcnt(0)
	ds_write_b32 v1, v0 offset:9408
	s_waitcnt lgkmcnt(0)
	; wave barrier
	s_waitcnt lgkmcnt(0)
	ds_read2_b32 v[0:1], v194 offset0:38 offset1:87
	ds_read2_b32 v[2:3], v185 offset0:174 offset1:223
	ds_read2_b32 v[8:9], v194 offset0:136 offset1:185
	s_waitcnt lgkmcnt(2)
	v_lshrrev_b32_e32 v4, 16, v1
	v_mul_f16_sdwa v5, v103, v1 dst_sel:DWORD dst_unused:UNUSED_PAD src0_sel:WORD_1 src1_sel:DWORD
	v_fma_f16 v10, v103, v4, -v5
	v_mul_f16_sdwa v4, v103, v4 dst_sel:DWORD dst_unused:UNUSED_PAD src0_sel:WORD_1 src1_sel:DWORD
	s_waitcnt lgkmcnt(1)
	v_lshrrev_b32_e32 v6, 16, v2
	v_fma_f16 v11, v103, v1, v4
	ds_read2_b32 v[4:5], v158 offset0:84 offset1:133
	v_mul_f16_sdwa v1, v104, v2 dst_sel:DWORD dst_unused:UNUSED_PAD src0_sel:WORD_1 src1_sel:DWORD
	v_fma_f16 v84, v104, v6, -v1
	v_mul_f16_sdwa v1, v104, v6 dst_sel:DWORD dst_unused:UNUSED_PAD src0_sel:WORD_1 src1_sel:DWORD
	v_fma_f16 v85, v104, v2, v1
	ds_read2_b32 v[1:2], v188 offset0:92 offset1:141
	s_waitcnt lgkmcnt(1)
	v_lshrrev_b32_e32 v6, 16, v5
	v_mul_f16_sdwa v7, v105, v5 dst_sel:DWORD dst_unused:UNUSED_PAD src0_sel:WORD_1 src1_sel:DWORD
	v_fma_f16 v86, v105, v6, -v7
	v_mul_f16_sdwa v6, v105, v6 dst_sel:DWORD dst_unused:UNUSED_PAD src0_sel:WORD_1 src1_sel:DWORD
	v_fma_f16 v90, v105, v5, v6
	s_waitcnt lgkmcnt(0)
	v_lshrrev_b32_e32 v5, 16, v1
	v_mul_f16_sdwa v6, v106, v1 dst_sel:DWORD dst_unused:UNUSED_PAD src0_sel:WORD_1 src1_sel:DWORD
	v_fma_f16 v91, v106, v5, -v6
	v_mul_f16_sdwa v5, v106, v5 dst_sel:DWORD dst_unused:UNUSED_PAD src0_sel:WORD_1 src1_sel:DWORD
	v_fma_f16 v92, v106, v1, v5
	v_lshrrev_b32_e32 v1, 16, v3
	v_mul_f16_sdwa v5, v108, v1 dst_sel:DWORD dst_unused:UNUSED_PAD src0_sel:WORD_1 src1_sel:DWORD
	v_fma_f16 v53, v108, v3, v5
	v_mul_f16_sdwa v3, v108, v3 dst_sel:DWORD dst_unused:UNUSED_PAD src0_sel:WORD_1 src1_sel:DWORD
	v_fma_f16 v54, v108, v1, -v3
	v_lshrrev_b32_e32 v1, 16, v2
	v_mul_f16_sdwa v3, v110, v1 dst_sel:DWORD dst_unused:UNUSED_PAD src0_sel:WORD_1 src1_sel:DWORD
	v_fma_f16 v55, v110, v2, v3
	v_mul_f16_sdwa v2, v110, v2 dst_sel:DWORD dst_unused:UNUSED_PAD src0_sel:WORD_1 src1_sel:DWORD
	v_fma_f16 v56, v110, v1, -v2
	ds_read2_b32 v[1:2], v187 offset0:54 offset1:103
	v_lshrrev_b32_e32 v3, 16, v8
	v_mul_f16_sdwa v5, v107, v8 dst_sel:DWORD dst_unused:UNUSED_PAD src0_sel:WORD_1 src1_sel:DWORD
	v_fma_f16 v57, v107, v3, -v5
	v_mul_f16_sdwa v3, v107, v3 dst_sel:DWORD dst_unused:UNUSED_PAD src0_sel:WORD_1 src1_sel:DWORD
	v_fma_f16 v59, v107, v8, v3
	s_waitcnt lgkmcnt(0)
	v_lshrrev_b32_e32 v3, 16, v1
	v_mul_f16_sdwa v5, v109, v1 dst_sel:DWORD dst_unused:UNUSED_PAD src0_sel:WORD_1 src1_sel:DWORD
	v_fma_f16 v58, v109, v3, -v5
	v_mul_f16_sdwa v3, v109, v3 dst_sel:DWORD dst_unused:UNUSED_PAD src0_sel:WORD_1 src1_sel:DWORD
	v_fma_f16 v81, v109, v1, v3
	v_lshrrev_b32_e32 v1, 16, v9
	v_mul_f16_sdwa v3, v60, v1 dst_sel:DWORD dst_unused:UNUSED_PAD src0_sel:WORD_1 src1_sel:DWORD
	v_fma_f16 v82, v60, v9, v3
	v_mul_f16_sdwa v3, v60, v9 dst_sel:DWORD dst_unused:UNUSED_PAD src0_sel:WORD_1 src1_sel:DWORD
	v_fma_f16 v60, v60, v1, -v3
	v_lshrrev_b32_e32 v1, 16, v2
	ds_read2_b32 v[8:9], v184 offset0:16 offset1:65
	v_mul_f16_sdwa v3, v62, v1 dst_sel:DWORD dst_unused:UNUSED_PAD src0_sel:WORD_1 src1_sel:DWORD
	v_fma_f16 v87, v62, v2, v3
	v_mul_f16_sdwa v2, v62, v2 dst_sel:DWORD dst_unused:UNUSED_PAD src0_sel:WORD_1 src1_sel:DWORD
	v_fma_f16 v62, v62, v1, -v2
	ds_read2_b32 v[1:2], v188 offset0:190 offset1:239
	s_waitcnt lgkmcnt(1)
	v_lshrrev_b32_e32 v3, 16, v8
	v_mul_f16_sdwa v5, v61, v8 dst_sel:DWORD dst_unused:UNUSED_PAD src0_sel:WORD_1 src1_sel:DWORD
	v_fma_f16 v88, v61, v3, -v5
	v_mul_f16_sdwa v3, v61, v3 dst_sel:DWORD dst_unused:UNUSED_PAD src0_sel:WORD_1 src1_sel:DWORD
	v_fma_f16 v89, v61, v8, v3
	s_waitcnt lgkmcnt(0)
	v_lshrrev_b32_e32 v3, 16, v1
	v_mul_f16_sdwa v5, v63, v1 dst_sel:DWORD dst_unused:UNUSED_PAD src0_sel:WORD_1 src1_sel:DWORD
	v_fma_f16 v61, v63, v3, -v5
	v_mul_f16_sdwa v3, v63, v3 dst_sel:DWORD dst_unused:UNUSED_PAD src0_sel:WORD_1 src1_sel:DWORD
	v_fma_f16 v63, v63, v1, v3
	v_lshrrev_b32_e32 v1, 16, v9
	v_mul_f16_sdwa v3, v65, v1 dst_sel:DWORD dst_unused:UNUSED_PAD src0_sel:WORD_1 src1_sel:DWORD
	v_fma_f16 v28, v65, v9, v3
	v_mul_f16_sdwa v3, v65, v9 dst_sel:DWORD dst_unused:UNUSED_PAD src0_sel:WORD_1 src1_sel:DWORD
	v_fma_f16 v30, v65, v1, -v3
	v_lshrrev_b32_e32 v1, 16, v2
	ds_read2_b32 v[8:9], v213 offset0:106 offset1:155
	v_mul_f16_sdwa v3, v67, v1 dst_sel:DWORD dst_unused:UNUSED_PAD src0_sel:WORD_1 src1_sel:DWORD
	v_fma_f16 v31, v67, v2, v3
	v_mul_f16_sdwa v2, v67, v2 dst_sel:DWORD dst_unused:UNUSED_PAD src0_sel:WORD_1 src1_sel:DWORD
	v_fma_f16 v32, v67, v1, -v2
	ds_read2_b32 v[1:2], v187 offset0:152 offset1:201
	s_waitcnt lgkmcnt(1)
	;; [unrolled: 24-line block ×4, first 2 shown]
	v_lshrrev_b32_e32 v3, 16, v8
	v_mul_f16_sdwa v5, v72, v8 dst_sel:DWORD dst_unused:UNUSED_PAD src0_sel:WORD_1 src1_sel:DWORD
	v_fma_f16 v18, v72, v3, -v5
	v_mul_f16_sdwa v3, v72, v3 dst_sel:DWORD dst_unused:UNUSED_PAD src0_sel:WORD_1 src1_sel:DWORD
	v_fma_f16 v20, v72, v8, v3
	s_waitcnt lgkmcnt(0)
	v_lshrrev_b32_e32 v3, 16, v1
	v_mul_f16_sdwa v5, v74, v1 dst_sel:DWORD dst_unused:UNUSED_PAD src0_sel:WORD_1 src1_sel:DWORD
	v_fma_f16 v17, v74, v3, -v5
	v_mul_f16_sdwa v3, v74, v3 dst_sel:DWORD dst_unused:UNUSED_PAD src0_sel:WORD_1 src1_sel:DWORD
	v_fma_f16 v19, v74, v1, v3
	v_lshrrev_b32_e32 v1, 16, v9
	v_mul_f16_sdwa v3, v76, v1 dst_sel:DWORD dst_unused:UNUSED_PAD src0_sel:WORD_1 src1_sel:DWORD
	v_fma_f16 v5, v76, v9, v3
	v_mul_f16_sdwa v3, v76, v9 dst_sel:DWORD dst_unused:UNUSED_PAD src0_sel:WORD_1 src1_sel:DWORD
	v_fma_f16 v80, v76, v1, -v3
	v_lshrrev_b32_e32 v1, 16, v4
	v_mul_f16_sdwa v3, v77, v1 dst_sel:DWORD dst_unused:UNUSED_PAD src0_sel:WORD_1 src1_sel:DWORD
	v_fma_f16 v83, v77, v4, v3
	v_mul_f16_sdwa v3, v77, v4 dst_sel:DWORD dst_unused:UNUSED_PAD src0_sel:WORD_1 src1_sel:DWORD
	v_fma_f16 v8, v77, v1, -v3
	ds_read2_b32 v[3:4], v186 offset0:130 offset1:179
	v_lshrrev_b32_e32 v1, 16, v2
	v_mul_f16_sdwa v6, v78, v1 dst_sel:DWORD dst_unused:UNUSED_PAD src0_sel:WORD_1 src1_sel:DWORD
	v_fma_f16 v9, v78, v2, v6
	v_mul_f16_sdwa v2, v78, v2 dst_sel:DWORD dst_unused:UNUSED_PAD src0_sel:WORD_1 src1_sel:DWORD
	v_fma_f16 v6, v78, v1, -v2
	s_waitcnt lgkmcnt(0)
	v_lshrrev_b32_e32 v1, 16, v3
	v_mul_f16_sdwa v2, v79, v3 dst_sel:DWORD dst_unused:UNUSED_PAD src0_sel:WORD_1 src1_sel:DWORD
	v_fma_f16 v7, v79, v1, -v2
	v_mul_f16_sdwa v1, v79, v1 dst_sel:DWORD dst_unused:UNUSED_PAD src0_sel:WORD_1 src1_sel:DWORD
	v_fma_f16 v12, v79, v3, v1
	ds_read2_b32 v[1:2], v183 offset0:10 offset1:59
	v_lshrrev_b32_e32 v3, 16, v4
	v_mul_f16_sdwa v33, v170, v3 dst_sel:DWORD dst_unused:UNUSED_PAD src0_sel:WORD_1 src1_sel:DWORD
	v_fma_f16 v72, v170, v4, v33
	v_mul_f16_sdwa v4, v170, v4 dst_sel:DWORD dst_unused:UNUSED_PAD src0_sel:WORD_1 src1_sel:DWORD
	v_fma_f16 v73, v170, v3, -v4
	s_waitcnt lgkmcnt(0)
	v_lshrrev_b32_e32 v3, 16, v1
	v_mul_f16_sdwa v4, v171, v1 dst_sel:DWORD dst_unused:UNUSED_PAD src0_sel:WORD_1 src1_sel:DWORD
	v_fma_f16 v74, v171, v3, -v4
	v_mul_f16_sdwa v3, v171, v3 dst_sel:DWORD dst_unused:UNUSED_PAD src0_sel:WORD_1 src1_sel:DWORD
	v_fma_f16 v75, v171, v1, v3
	;; [unrolled: 12-line block ×6, first 2 shown]
	ds_read2_b32 v[3:4], v182 offset0:168 offset1:217
	v_lshrrev_b32_e32 v1, 16, v2
	v_mul_f16_sdwa v33, v120, v1 dst_sel:DWORD dst_unused:UNUSED_PAD src0_sel:WORD_1 src1_sel:DWORD
	v_fma_f16 v42, v120, v2, v33
	v_mul_f16_sdwa v2, v120, v2 dst_sel:DWORD dst_unused:UNUSED_PAD src0_sel:WORD_1 src1_sel:DWORD
	v_fma_f16 v43, v120, v1, -v2
	s_waitcnt lgkmcnt(0)
	v_lshrrev_b32_e32 v1, 16, v3
	v_mul_f16_sdwa v2, v119, v3 dst_sel:DWORD dst_unused:UNUSED_PAD src0_sel:WORD_1 src1_sel:DWORD
	v_fma_f16 v41, v119, v1, -v2
	ds_read_b32 v2, v134 offset:9408
	v_mul_f16_sdwa v1, v119, v1 dst_sel:DWORD dst_unused:UNUSED_PAD src0_sel:WORD_1 src1_sel:DWORD
	v_fma_f16 v44, v119, v3, v1
	v_lshrrev_b32_e32 v1, 16, v4
	v_mul_f16_sdwa v3, v121, v1 dst_sel:DWORD dst_unused:UNUSED_PAD src0_sel:WORD_1 src1_sel:DWORD
	v_fma_f16 v33, v121, v4, v3
	v_mul_f16_sdwa v3, v121, v4 dst_sel:DWORD dst_unused:UNUSED_PAD src0_sel:WORD_1 src1_sel:DWORD
	v_fma_f16 v34, v121, v1, -v3
	s_waitcnt lgkmcnt(0)
	v_lshrrev_b32_e32 v1, 16, v2
	v_mul_f16_sdwa v3, v122, v1 dst_sel:DWORD dst_unused:UNUSED_PAD src0_sel:WORD_1 src1_sel:DWORD
	v_fma_f16 v38, v122, v2, v3
	v_mul_f16_sdwa v2, v122, v2 dst_sel:DWORD dst_unused:UNUSED_PAD src0_sel:WORD_1 src1_sel:DWORD
	v_fma_f16 v39, v122, v1, -v2
	v_add_f16_e32 v1, v11, v75
	v_add_f16_e32 v3, v10, v74
	v_sub_f16_e32 v4, v10, v74
	v_add_f16_e32 v10, v85, v72
	v_sub_f16_e32 v2, v11, v75
	v_sub_f16_e32 v11, v85, v72
	v_add_f16_e32 v72, v84, v73
	v_add_f16_e32 v74, v90, v92
	v_sub_f16_e32 v75, v92, v90
	v_add_f16_e32 v76, v86, v91
	v_add_f16_e32 v78, v10, v1
	v_sub_f16_e32 v73, v84, v73
	v_sub_f16_e32 v79, v10, v1
	;; [unrolled: 1-line block ×4, first 2 shown]
	v_add_f16_e32 v78, v74, v78
	v_add_f16_e32 v74, v72, v3
	v_sub_f16_e32 v84, v72, v3
	v_sub_f16_e32 v85, v3, v76
	v_add_f16_e32 v3, v75, v11
	v_sub_f16_e32 v77, v91, v86
	v_sub_f16_e32 v86, v75, v11
	;; [unrolled: 1-line block ×4, first 2 shown]
	v_add_f16_e32 v90, v3, v2
	ds_read2_b32 v[2:3], v134 offset1:49
	v_sub_f16_e32 v72, v76, v72
	v_add_f16_e32 v76, v76, v74
	v_add_f16_e32 v74, v77, v73
	v_sub_f16_e32 v91, v77, v73
	s_waitcnt lgkmcnt(0)
	v_add_f16_e32 v92, v78, v2
	v_add_f16_sdwa v2, v76, v2 dst_sel:DWORD dst_unused:UNUSED_PAD src0_sel:DWORD src1_sel:WORD_1
	v_sub_f16_e32 v77, v4, v77
	v_sub_f16_e32 v73, v73, v4
	v_add_f16_e32 v4, v74, v4
	v_lshlrev_b32_e32 v74, 16, v2
	v_fma_f16 v2, v76, s6, v2
	v_mul_f16_e32 v1, 0x3a52, v1
	v_mul_f16_e32 v76, 0x2b26, v10
	v_fma_f16 v10, v10, s12, v1
	v_fma_f16 v76, v79, s13, -v76
	v_fma_f16 v1, v79, s1, -v1
	v_mul_f16_e32 v79, 0x3a52, v85
	v_mul_f16_e32 v85, 0x2b26, v72
	v_fma_f16 v72, v72, s12, v79
	v_fma_f16 v85, v84, s13, -v85
	v_fma_f16 v79, v84, s1, -v79
	v_mul_f16_e32 v84, 0x3846, v86
	v_mul_f16_e32 v86, 0x3b00, v11
	v_fma_f16 v11, v11, s3, -v84
	v_fma_f16 v84, v75, s0, v84
	v_fma_f16 v75, v75, s7, v86
	v_mul_f16_e32 v86, 0x3846, v91
	v_fma_f16 v78, v78, s6, v92
	v_mul_f16_e32 v91, 0x3b00, v73
	v_fma_f16 v73, v73, s3, -v86
	v_fma_f16 v86, v77, s0, v86
	v_fma_f16 v77, v77, s7, v91
	v_add_f16_e32 v10, v10, v78
	v_add_f16_e32 v72, v72, v2
	v_fma_f16 v84, v90, s2, v84
	v_fma_f16 v86, v4, s2, v86
	v_add_f16_e32 v76, v76, v78
	v_add_f16_e32 v78, v1, v78
	;; [unrolled: 1-line block ×4, first 2 shown]
	v_fma_f16 v11, v90, s2, v11
	v_fma_f16 v75, v90, s2, v75
	v_fma_f16 v2, v4, s2, v73
	v_fma_f16 v4, v4, s2, v77
	v_add_f16_e32 v91, v86, v10
	v_sub_f16_e32 v10, v10, v86
	v_sub_f16_e32 v86, v72, v84
	v_add_f16_e32 v84, v84, v72
	v_add_f16_e32 v77, v59, v64
	;; [unrolled: 1-line block ×3, first 2 shown]
	v_sub_f16_e32 v1, v76, v2
	v_add_f16_e32 v90, v11, v85
	v_sub_f16_e32 v11, v85, v11
	v_add_f16_e32 v85, v4, v78
	v_sub_f16_e32 v4, v78, v4
	v_sub_f16_e32 v78, v79, v75
	v_add_f16_e32 v79, v75, v79
	v_add_f16_e32 v73, v81, v55
	;; [unrolled: 1-line block ×3, first 2 shown]
	v_or_b32_e32 v74, v74, v92
	v_add_f16_e32 v2, v2, v76
	v_add_f16_e32 v92, v73, v75
	;; [unrolled: 1-line block ×4, first 2 shown]
	v_pack_b32_f16 v1, v1, v90
	v_add_f16_e32 v76, v58, v56
	v_add_f16_e32 v94, v75, v93
	ds_write_b32 v134, v1 offset:4116
	v_pack_b32_f16 v1, v2, v11
	v_add_f16_e32 v94, v76, v94
	ds_write_b32 v134, v1 offset:5488
	v_pack_b32_f16 v1, v4, v79
	v_add_f16_e32 v95, v92, v3
	v_add_f16_sdwa v96, v94, v3 dst_sel:DWORD dst_unused:UNUSED_PAD src0_sel:DWORD src1_sel:WORD_1
	v_pack_b32_f16 v3, v91, v86
	ds_write_b32 v134, v1 offset:6860
	v_pack_b32_f16 v1, v10, v84
	ds_write_b32 v134, v3 offset:1372
	;; [unrolled: 2-line block ×3, first 2 shown]
	v_lshlrev_b32_e32 v1, 16, v96
	ds_write_b32 v134, v3 offset:2744
	v_or_b32_e32 v10, v1, v95
	v_sub_f16_e32 v53, v53, v69
	v_sub_f16_e32 v54, v54, v66
	;; [unrolled: 1-line block ×4, first 2 shown]
	ds_read2_b32 v[3:4], v134 offset0:98 offset1:147
	ds_read2_b32 v[1:2], v134 offset0:196 offset1:245
	ds_write2_b32 v134, v74, v10 offset1:49
	v_sub_f16_e32 v10, v59, v64
	v_sub_f16_e32 v11, v57, v65
	v_add_f16_e32 v59, v82, v71
	v_sub_f16_e32 v64, v82, v71
	v_add_f16_e32 v79, v55, v53
	v_add_f16_e32 v82, v56, v54
	v_sub_f16_e32 v74, v77, v73
	v_sub_f16_e32 v78, v93, v76
	v_add_f16_e32 v79, v79, v10
	v_sub_f16_e32 v81, v10, v55
	v_sub_f16_e32 v10, v53, v10
	;; [unrolled: 3-line block ×4, first 2 shown]
	v_sub_f16_e32 v77, v75, v93
	v_mul_f16_e32 v74, 0x3a52, v74
	v_mul_f16_e32 v78, 0x3a52, v78
	;; [unrolled: 1-line block ×4, first 2 shown]
	v_fma_f16 v57, v92, s6, v95
	v_fma_f16 v58, v94, s6, v96
	v_add_f16_e32 v65, v60, v70
	v_sub_f16_e32 v60, v60, v70
	v_add_f16_e32 v69, v88, v68
	v_sub_f16_e32 v68, v88, v68
	;; [unrolled: 2-line block ×3, first 2 shown]
	v_fma_f16 v85, v81, s7, v85
	v_fma_f16 v86, v84, s7, v86
	v_fma_f16 v87, v62, s1, -v74
	v_fma_f16 v88, v77, s1, -v78
	v_add_f16_e32 v66, v89, v67
	v_sub_f16_e32 v67, v89, v67
	v_add_f16_e32 v87, v87, v57
	v_add_f16_e32 v88, v88, v58
	v_fma_f16 v85, v79, s2, v85
	v_fma_f16 v86, v82, s2, v86
	v_sub_f16_e32 v53, v55, v53
	v_sub_f16_e32 v54, v56, v54
	v_add_f16_e32 v89, v86, v87
	v_sub_f16_e32 v90, v88, v85
	v_add_f16_e32 v94, v63, v67
	v_add_f16_e32 v96, v61, v68
	v_sub_f16_e32 v72, v73, v72
	v_sub_f16_e32 v73, v76, v75
	v_mul_f16_e32 v53, 0x3846, v53
	v_mul_f16_e32 v54, 0x3846, v54
	v_pack_b32_f16 v89, v89, v90
	v_add_f16_e32 v90, v66, v59
	v_sub_f16_e32 v91, v66, v59
	v_add_f16_e32 v92, v69, v65
	v_sub_f16_e32 v93, v69, v65
	;; [unrolled: 2-line block ×3, first 2 shown]
	v_sub_f16_e32 v64, v67, v64
	v_add_f16_e32 v96, v96, v60
	v_sub_f16_e32 v97, v60, v61
	v_sub_f16_e32 v60, v68, v60
	;; [unrolled: 1-line block ×6, first 2 shown]
	v_fma_f16 v66, v72, s12, v74
	v_fma_f16 v67, v73, s12, v78
	;; [unrolled: 1-line block ×4, first 2 shown]
	v_sub_f16_e32 v59, v59, v70
	v_sub_f16_e32 v65, v65, v71
	v_add_f16_e32 v90, v70, v90
	v_add_f16_e32 v92, v71, v92
	;; [unrolled: 1-line block ×4, first 2 shown]
	v_fma_f16 v68, v79, s2, v68
	v_fma_f16 v69, v82, s2, v69
	v_mul_f16_e32 v59, 0x3a52, v59
	v_mul_f16_e32 v65, 0x3a52, v65
	s_waitcnt lgkmcnt(2)
	v_add_f16_e32 v98, v90, v3
	v_add_f16_sdwa v3, v92, v3 dst_sel:DWORD dst_unused:UNUSED_PAD src0_sel:DWORD src1_sel:WORD_1
	v_add_f16_e32 v70, v69, v66
	v_sub_f16_e32 v71, v67, v68
	v_mul_f16_e32 v63, 0x3846, v63
	v_mul_f16_e32 v61, 0x3846, v61
	v_fma_f16 v90, v90, s6, v98
	v_fma_f16 v92, v92, s6, v3
	v_fma_f16 v101, v91, s1, -v59
	v_fma_f16 v102, v93, s1, -v65
	v_pack_b32_f16 v70, v70, v71
	v_fma_f16 v59, v55, s12, v59
	v_fma_f16 v65, v56, s12, v65
	;; [unrolled: 1-line block ×4, first 2 shown]
	v_add_f16_e32 v59, v59, v90
	v_add_f16_e32 v65, v65, v92
	v_fma_f16 v71, v94, s2, v71
	v_fma_f16 v74, v96, s2, v74
	v_add_f16_e32 v75, v74, v59
	v_sub_f16_e32 v76, v65, v71
	v_pack_b32_f16 v75, v75, v76
	ds_write2_b32 v194, v70, v75 offset0:136 offset1:185
	v_mul_f16_e32 v70, 0x2b26, v72
	v_fma_f16 v62, v62, s13, -v70
	v_mul_f16_e32 v70, 0x2b26, v73
	v_fma_f16 v70, v77, s13, -v70
	v_mul_f16_e32 v55, 0x2b26, v55
	v_mul_f16_e32 v56, 0x2b26, v56
	v_fma_f16 v10, v10, s3, -v53
	v_fma_f16 v11, v11, s3, -v54
	v_add_f16_e32 v53, v62, v57
	v_add_f16_e32 v54, v70, v58
	v_fma_f16 v55, v91, s13, -v55
	v_fma_f16 v56, v93, s13, -v56
	;; [unrolled: 1-line block ×4, first 2 shown]
	v_mul_f16_e32 v99, 0x3b00, v64
	v_mul_f16_e32 v100, 0x3b00, v60
	v_fma_f16 v10, v79, s2, v10
	v_fma_f16 v11, v82, s2, v11
	v_add_f16_e32 v55, v55, v90
	v_add_f16_e32 v56, v56, v92
	v_fma_f16 v57, v94, s2, v57
	v_fma_f16 v58, v96, s2, v58
	;; [unrolled: 1-line block ×4, first 2 shown]
	v_sub_f16_e32 v60, v53, v11
	v_add_f16_e32 v61, v10, v54
	v_add_f16_e32 v11, v11, v53
	v_sub_f16_e32 v10, v54, v10
	v_add_f16_e32 v53, v58, v55
	v_sub_f16_e32 v54, v56, v57
	v_add_f16_e32 v101, v101, v90
	v_add_f16_e32 v102, v102, v92
	v_fma_f16 v99, v94, s2, v99
	v_fma_f16 v100, v96, s2, v100
	v_pack_b32_f16 v10, v11, v10
	v_pack_b32_f16 v11, v53, v54
	ds_write2_b32 v188, v10, v11 offset0:141 offset1:190
	v_sub_f16_e32 v10, v87, v86
	v_add_f16_e32 v11, v85, v88
	v_sub_f16_e32 v53, v101, v100
	v_add_f16_e32 v54, v99, v102
	v_pack_b32_f16 v10, v10, v11
	v_pack_b32_f16 v11, v53, v54
	ds_write2_b32 v189, v10, v11 offset0:100 offset1:149
	v_sub_f16_e32 v10, v66, v69
	v_add_f16_e32 v11, v68, v67
	v_sub_f16_e32 v53, v59, v74
	v_add_f16_e32 v54, v71, v65
	v_pack_b32_f16 v10, v10, v11
	v_pack_b32_f16 v11, v53, v54
	v_pack_b32_f16 v60, v60, v61
	v_sub_f16_e32 v61, v55, v58
	v_add_f16_e32 v62, v57, v56
	ds_write2_b32 v183, v10, v11 offset0:59 offset1:108
	v_add_f16_e32 v10, v37, v49
	v_add_f16_e32 v11, v28, v52
	;; [unrolled: 1-line block ×10, first 2 shown]
	v_pack_b32_f16 v61, v61, v62
	v_add_f16_e32 v59, v54, v4
	v_add_f16_sdwa v4, v58, v4 dst_sel:DWORD dst_unused:UNUSED_PAD src0_sel:DWORD src1_sel:WORD_1
	ds_write2_b32 v187, v60, v61 offset0:54 offset1:103
	v_lshlrev_b32_e32 v3, 16, v3
	v_lshlrev_b32_e32 v60, 16, v4
	v_or_b32_e32 v3, v3, v98
	v_or_b32_e32 v60, v60, v59
	v_sub_f16_e32 v32, v32, v36
	v_sub_f16_e32 v36, v11, v10
	;; [unrolled: 1-line block ×4, first 2 shown]
	ds_write2_b32 v134, v3, v60 offset0:98 offset1:147
	v_sub_f16_e32 v3, v37, v49
	v_sub_f16_e32 v28, v28, v52
	;; [unrolled: 1-line block ×5, first 2 shown]
	v_mul_f16_e32 v10, 0x3a52, v10
	v_mul_f16_e32 v53, 0x2b26, v11
	v_sub_f16_e32 v35, v35, v50
	v_sub_f16_e32 v30, v30, v51
	;; [unrolled: 1-line block ×3, first 2 shown]
	v_add_f16_e32 v50, v31, v28
	v_sub_f16_e32 v51, v31, v28
	v_sub_f16_e32 v28, v28, v3
	v_fma_f16 v11, v11, s12, v10
	v_fma_f16 v53, v36, s13, -v53
	v_fma_f16 v10, v36, s1, -v10
	v_mul_f16_e32 v36, 0x3a52, v40
	v_mul_f16_e32 v40, 0x2b26, v49
	v_sub_f16_e32 v31, v3, v31
	v_add_f16_e32 v3, v50, v3
	v_add_f16_e32 v50, v32, v30
	v_sub_f16_e32 v52, v32, v30
	v_sub_f16_e32 v30, v30, v35
	v_fma_f16 v49, v49, s12, v36
	v_fma_f16 v40, v37, s13, -v40
	v_fma_f16 v36, v37, s1, -v36
	v_mul_f16_e32 v37, 0x3846, v51
	v_mul_f16_e32 v51, 0x3b00, v28
	v_sub_f16_e32 v32, v35, v32
	v_fma_f16 v28, v28, s3, -v37
	v_fma_f16 v37, v31, s0, v37
	v_fma_f16 v31, v31, s7, v51
	v_mul_f16_e32 v51, 0x3846, v52
	v_mul_f16_e32 v52, 0x3b00, v30
	v_add_f16_e32 v35, v50, v35
	v_fma_f16 v50, v54, s6, v59
	v_fma_f16 v4, v58, s6, v4
	v_fma_f16 v30, v30, s3, -v51
	v_fma_f16 v51, v32, s0, v51
	v_fma_f16 v32, v32, s7, v52
	v_add_f16_e32 v11, v11, v50
	v_add_f16_e32 v10, v10, v50
	;; [unrolled: 1-line block ×5, first 2 shown]
	v_fma_f16 v36, v3, s2, v37
	v_fma_f16 v28, v3, s2, v28
	;; [unrolled: 1-line block ×5, first 2 shown]
	v_add_f16_e32 v37, v28, v40
	v_sub_f16_e32 v28, v40, v28
	v_add_f16_e32 v40, v32, v10
	v_sub_f16_e32 v10, v10, v32
	v_sub_f16_e32 v32, v4, v3
	v_add_f16_e32 v3, v3, v4
	v_add_f16_e32 v4, v31, v11
	v_sub_f16_e32 v11, v11, v31
	v_sub_f16_e32 v31, v49, v36
	v_add_f16_e32 v36, v36, v49
	v_add_f16_e32 v49, v21, v48
	v_sub_f16_e32 v21, v21, v48
	v_add_f16_e32 v48, v22, v47
	v_sub_f16_e32 v22, v22, v47
	;; [unrolled: 2-line block ×6, first 2 shown]
	v_add_f16_e32 v26, v47, v49
	v_add_f16_e32 v52, v53, v50
	v_sub_f16_e32 v50, v47, v49
	v_sub_f16_e32 v49, v49, v46
	;; [unrolled: 1-line block ×3, first 2 shown]
	v_add_f16_e32 v26, v46, v26
	v_add_f16_e32 v46, v45, v48
	v_fma_f16 v30, v35, s2, v30
	v_sub_f16_e32 v51, v45, v48
	v_sub_f16_e32 v48, v48, v29
	;; [unrolled: 1-line block ×3, first 2 shown]
	v_add_f16_e32 v29, v29, v46
	v_add_f16_e32 v46, v23, v27
	v_sub_f16_e32 v35, v52, v30
	v_add_f16_e32 v30, v30, v52
	v_sub_f16_e32 v52, v23, v27
	v_sub_f16_e32 v23, v21, v23
	;; [unrolled: 1-line block ×3, first 2 shown]
	v_add_f16_e32 v21, v46, v21
	v_add_f16_e32 v46, v24, v25
	v_sub_f16_e32 v53, v24, v25
	v_sub_f16_e32 v24, v22, v24
	;; [unrolled: 1-line block ×3, first 2 shown]
	v_add_f16_e32 v22, v46, v22
	s_waitcnt lgkmcnt(7)
	v_add_f16_e32 v46, v26, v1
	v_add_f16_sdwa v1, v29, v1 dst_sel:DWORD dst_unused:UNUSED_PAD src0_sel:DWORD src1_sel:WORD_1
	v_lshlrev_b32_e32 v54, 16, v1
	v_or_b32_e32 v54, v54, v46
	v_fma_f16 v26, v26, s6, v46
	v_fma_f16 v1, v29, s6, v1
	v_mul_f16_e32 v29, 0x3a52, v49
	v_mul_f16_e32 v46, 0x2b26, v47
	;; [unrolled: 1-line block ×4, first 2 shown]
	v_fma_f16 v47, v47, s12, v29
	v_fma_f16 v46, v50, s13, -v46
	v_fma_f16 v29, v50, s1, -v29
	v_fma_f16 v45, v45, s12, v48
	v_fma_f16 v49, v51, s13, -v49
	v_fma_f16 v48, v51, s1, -v48
	v_mul_f16_e32 v50, 0x3846, v52
	v_mul_f16_e32 v51, 0x3b00, v27
	v_fma_f16 v27, v27, s3, -v50
	v_fma_f16 v50, v23, s0, v50
	v_fma_f16 v23, v23, s7, v51
	v_mul_f16_e32 v51, 0x3846, v53
	v_mul_f16_e32 v52, 0x3b00, v25
	v_fma_f16 v25, v25, s3, -v51
	v_fma_f16 v51, v24, s0, v51
	v_fma_f16 v24, v24, s7, v52
	v_add_f16_e32 v47, v47, v26
	v_add_f16_e32 v46, v46, v26
	;; [unrolled: 1-line block ×6, first 2 shown]
	v_fma_f16 v48, v21, s2, v50
	v_fma_f16 v27, v21, s2, v27
	;; [unrolled: 1-line block ×6, first 2 shown]
	v_sub_f16_e32 v24, v46, v25
	v_add_f16_e32 v25, v25, v46
	v_add_f16_e32 v46, v27, v45
	v_sub_f16_e32 v27, v45, v27
	v_add_f16_e32 v45, v22, v26
	v_sub_f16_e32 v22, v26, v22
	v_sub_f16_e32 v26, v1, v21
	v_add_f16_e32 v1, v21, v1
	v_add_f16_e32 v21, v23, v47
	v_sub_f16_e32 v23, v47, v23
	v_sub_f16_e32 v47, v29, v48
	v_add_f16_e32 v29, v48, v29
	v_add_f16_e32 v48, v20, v42
	v_sub_f16_e32 v20, v20, v42
	v_add_f16_e32 v42, v18, v43
	v_sub_f16_e32 v18, v18, v43
	;; [unrolled: 2-line block ×7, first 2 shown]
	v_sub_f16_e32 v48, v48, v41
	v_sub_f16_e32 v43, v41, v43
	v_add_f16_e32 v17, v41, v17
	v_add_f16_e32 v41, v44, v42
	v_sub_f16_e32 v50, v44, v42
	v_sub_f16_e32 v42, v42, v19
	v_sub_f16_e32 v44, v19, v44
	v_add_f16_e32 v19, v19, v41
	v_add_f16_e32 v41, v15, v13
	v_sub_f16_e32 v51, v15, v13
	;; [unrolled: 5-line block ×3, first 2 shown]
	v_sub_f16_e32 v16, v18, v16
	v_sub_f16_e32 v14, v14, v18
	v_add_f16_e32 v18, v41, v18
	v_add_f16_e32 v41, v17, v2
	v_add_f16_sdwa v2, v19, v2 dst_sel:DWORD dst_unused:UNUSED_PAD src0_sel:DWORD src1_sel:WORD_1
	v_lshlrev_b32_e32 v53, 16, v2
	v_or_b32_e32 v53, v53, v41
	v_fma_f16 v17, v17, s6, v41
	v_fma_f16 v2, v19, s6, v2
	v_mul_f16_e32 v19, 0x3a52, v48
	v_mul_f16_e32 v41, 0x2b26, v43
	;; [unrolled: 1-line block ×4, first 2 shown]
	v_fma_f16 v43, v43, s12, v19
	v_fma_f16 v41, v49, s13, -v41
	v_fma_f16 v19, v49, s1, -v19
	v_fma_f16 v44, v44, s12, v42
	v_fma_f16 v48, v50, s13, -v48
	v_fma_f16 v42, v50, s1, -v42
	v_mul_f16_e32 v49, 0x3846, v51
	v_mul_f16_e32 v50, 0x3b00, v13
	v_fma_f16 v13, v13, s3, -v49
	v_fma_f16 v49, v15, s0, v49
	v_fma_f16 v15, v15, s7, v50
	v_mul_f16_e32 v50, 0x3846, v52
	v_mul_f16_e32 v51, 0x3b00, v14
	v_fma_f16 v14, v14, s3, -v50
	v_fma_f16 v50, v16, s0, v50
	v_fma_f16 v16, v16, s7, v51
	v_add_f16_e32 v43, v43, v17
	v_add_f16_e32 v41, v41, v17
	;; [unrolled: 1-line block ×6, first 2 shown]
	v_fma_f16 v42, v20, s2, v49
	v_fma_f16 v13, v20, s2, v13
	;; [unrolled: 1-line block ×6, first 2 shown]
	v_sub_f16_e32 v18, v41, v14
	v_add_f16_e32 v14, v14, v41
	v_add_f16_e32 v41, v13, v44
	v_sub_f16_e32 v13, v44, v13
	v_add_f16_e32 v44, v16, v17
	v_sub_f16_e32 v16, v17, v16
	v_sub_f16_e32 v17, v2, v15
	v_add_f16_e32 v2, v15, v2
	v_add_f16_e32 v15, v20, v43
	v_sub_f16_e32 v20, v43, v20
	v_sub_f16_e32 v43, v19, v42
	v_add_f16_e32 v19, v42, v19
	v_add_f16_e32 v42, v5, v38
	;; [unrolled: 1-line block ×3, first 2 shown]
	v_sub_f16_e32 v5, v5, v38
	v_add_f16_e32 v38, v80, v39
	v_add_f16_e32 v49, v8, v34
	v_sub_f16_e32 v8, v8, v34
	v_add_f16_e32 v34, v9, v12
	v_sub_f16_e32 v9, v12, v9
	;; [unrolled: 2-line block ×4, first 2 shown]
	v_sub_f16_e32 v50, v48, v42
	v_sub_f16_e32 v42, v42, v34
	;; [unrolled: 1-line block ×3, first 2 shown]
	v_add_f16_e32 v7, v34, v7
	v_add_f16_e32 v34, v49, v38
	v_sub_f16_e32 v51, v49, v38
	v_sub_f16_e32 v38, v38, v12
	;; [unrolled: 1-line block ×3, first 2 shown]
	v_add_f16_e32 v12, v12, v34
	v_add_f16_e32 v34, v9, v33
	v_sub_f16_e32 v39, v80, v39
	v_sub_f16_e32 v52, v9, v33
	v_sub_f16_e32 v9, v5, v9
	v_sub_f16_e32 v33, v33, v5
	v_add_f16_e32 v5, v34, v5
	v_add_f16_e32 v34, v6, v8
	v_sub_f16_e32 v55, v6, v8
	v_sub_f16_e32 v6, v39, v6
	;; [unrolled: 1-line block ×3, first 2 shown]
	v_add_f16_e32 v34, v34, v39
	v_add_f16_e32 v39, v7, v0
	v_add_f16_sdwa v0, v12, v0 dst_sel:DWORD dst_unused:UNUSED_PAD src0_sel:DWORD src1_sel:WORD_1
	v_lshlrev_b32_e32 v56, 16, v0
	v_fma_f16 v0, v12, s6, v0
	v_mul_f16_e32 v12, 0x3a52, v42
	v_or_b32_e32 v56, v56, v39
	v_fma_f16 v7, v7, s6, v39
	v_mul_f16_e32 v39, 0x2b26, v48
	v_fma_f16 v42, v48, s12, v12
	v_mul_f16_e32 v38, 0x3a52, v38
	v_mul_f16_e32 v48, 0x2b26, v49
	v_fma_f16 v39, v50, s13, -v39
	v_fma_f16 v12, v50, s1, -v12
	v_fma_f16 v49, v49, s12, v38
	v_fma_f16 v48, v51, s13, -v48
	v_fma_f16 v38, v51, s1, -v38
	v_mul_f16_e32 v50, 0x3846, v52
	v_mul_f16_e32 v51, 0x3b00, v33
	v_fma_f16 v33, v33, s3, -v50
	v_fma_f16 v50, v9, s0, v50
	v_fma_f16 v9, v9, s7, v51
	v_mul_f16_e32 v51, 0x3846, v55
	v_mul_f16_e32 v52, 0x3b00, v8
	v_pack_b32_f16 v4, v4, v31
	v_pack_b32_f16 v3, v10, v3
	;; [unrolled: 1-line block ×4, first 2 shown]
	v_fma_f16 v8, v8, s3, -v51
	v_fma_f16 v51, v6, s0, v51
	v_fma_f16 v6, v6, s7, v52
	v_pack_b32_f16 v31, v40, v32
	ds_write2_b32 v213, v4, v11 offset0:106 offset1:155
	v_pack_b32_f16 v4, v45, v26
	v_add_f16_e32 v103, v100, v101
	v_sub_f16_e32 v104, v102, v99
	v_add_f16_e32 v42, v42, v7
	v_add_f16_e32 v39, v39, v7
	;; [unrolled: 1-line block ×6, first 2 shown]
	v_fma_f16 v38, v5, s2, v50
	v_fma_f16 v33, v5, s2, v33
	;; [unrolled: 1-line block ×6, first 2 shown]
	v_pack_b32_f16 v32, v35, v37
	ds_write2_b32 v184, v31, v4 offset0:65 offset1:114
	v_pack_b32_f16 v4, v24, v46
	v_pack_b32_f16 v1, v22, v1
	v_pack_b32_f16 v103, v103, v104
	v_add_u32_e32 v104, 0xa00, v134
	v_sub_f16_e32 v34, v39, v8
	v_add_f16_e32 v8, v8, v39
	v_add_f16_e32 v39, v33, v48
	v_sub_f16_e32 v33, v48, v33
	v_add_f16_e32 v48, v6, v7
	v_sub_f16_e32 v6, v7, v6
	v_sub_f16_e32 v7, v0, v5
	v_add_f16_e32 v0, v5, v0
	v_add_f16_e32 v5, v9, v42
	v_sub_f16_e32 v9, v42, v9
	v_sub_f16_e32 v42, v12, v38
	v_pack_b32_f16 v28, v30, v28
	ds_write2_b32 v187, v32, v4 offset0:152 offset1:201
	v_pack_b32_f16 v4, v25, v27
	v_add_u32_e32 v11, 0x1600, v134
	ds_write2_b32 v182, v3, v1 offset0:70 offset1:119
	v_pack_b32_f16 v1, v23, v29
	ds_write2_b32 v104, v89, v103 offset0:95 offset1:144
	ds_write2_b32 v11, v28, v4 offset0:111 offset1:160
	;; [unrolled: 1-line block ×4, first 2 shown]
	v_pack_b32_f16 v1, v15, v43
	v_pack_b32_f16 v5, v5, v42
	;; [unrolled: 1-line block ×3, first 2 shown]
	ds_write2_b32 v185, v1, v5 offset0:76 offset1:125
	v_pack_b32_f16 v1, v48, v7
	v_pack_b32_f16 v4, v18, v41
	ds_write2_b32 v184, v3, v1 offset0:163 offset1:212
	v_pack_b32_f16 v1, v34, v39
	v_add_f16_e32 v12, v38, v12
	v_pack_b32_f16 v10, v14, v13
	v_pack_b32_f16 v2, v16, v2
	ds_write2_b32 v220, v4, v1 offset0:122 offset1:171
	v_pack_b32_f16 v1, v8, v33
	v_pack_b32_f16 v0, v6, v0
	;; [unrolled: 1-line block ×3, first 2 shown]
	ds_write2_b32 v186, v10, v1 offset0:81 offset1:130
	ds_write2_b32 v182, v2, v0 offset0:168 offset1:217
	v_pack_b32_f16 v0, v9, v12
	v_add_u32_e32 v1, 0x2200, v134
	ds_write_b32 v134, v56 offset:1176
	ds_write2_b32 v1, v11, v0 offset0:127 offset1:176
	s_waitcnt lgkmcnt(0)
	; wave barrier
	s_waitcnt lgkmcnt(0)
	buffer_load_dword v1, off, s[20:23], 0 offset:176 ; 4-byte Folded Reload
	ds_read2_b32 v[3:4], v134 offset1:49
	s_mov_b32 s2, 0xb4e81b4f
	s_mov_b32 s3, 0x3f3b4e81
	s_movk_i32 s6, 0x1ff
	s_movk_i32 s7, 0xffe
	s_waitcnt lgkmcnt(0)
	v_lshrrev_b32_e32 v8, 16, v3
	s_waitcnt vmcnt(0)
	v_mul_f16_sdwa v0, v1, v8 dst_sel:DWORD dst_unused:UNUSED_PAD src0_sel:WORD_1 src1_sel:DWORD
	v_fma_f16 v0, v1, v3, v0
	v_mov_b32_e32 v11, v1
	buffer_load_dword v1, off, s[20:23], 0 offset:152 ; 4-byte Folded Reload
	buffer_load_dword v2, off, s[20:23], 0 offset:156 ; 4-byte Folded Reload
	buffer_load_dword v13, off, s[20:23], 0 offset:180 ; 4-byte Folded Reload
	buffer_load_dword v16, off, s[20:23], 0 offset:168 ; 4-byte Folded Reload
	buffer_load_dword v18, off, s[20:23], 0 offset:164 ; 4-byte Folded Reload
	v_cvt_f32_f16_e32 v0, v0
	s_waitcnt vmcnt(4)
	v_mov_b32_e32 v7, v1
	v_cvt_f64_f32_e32 v[0:1], v0
	v_mad_u64_u32 v[5:6], s[0:1], s10, v7, 0
	s_movk_i32 s10, 0x40f
	v_mul_f64 v[0:1], v[0:1], s[2:3]
	s_waitcnt vmcnt(3)
	v_mov_b32_e32 v2, v6
	v_mad_u64_u32 v[6:7], s[0:1], s11, v7, v[2:3]
	v_mul_f16_sdwa v3, v11, v3 dst_sel:DWORD dst_unused:UNUSED_PAD src0_sel:WORD_1 src1_sel:DWORD
	v_fma_f16 v3, v11, v8, -v3
	v_cvt_f32_f16_e32 v3, v3
	v_mov_b32_e32 v11, 0x7c00
	v_and_or_b32 v0, v1, s6, v0
	v_cmp_ne_u32_e32 vcc, 0, v0
	v_cndmask_b32_e64 v0, 0, 1, vcc
	v_lshrrev_b32_e32 v2, 8, v1
	v_bfe_u32 v7, v1, 20, 11
	v_and_or_b32 v0, v2, s7, v0
	v_sub_u32_e32 v9, 0x3f1, v7
	v_or_b32_e32 v2, 0x1000, v0
	v_med3_i32 v9, v9, 0, 13
	v_lshrrev_b32_e32 v10, v9, v2
	v_lshlrev_b32_e32 v9, v9, v10
	v_cmp_ne_u32_e32 vcc, v9, v2
	v_cndmask_b32_e64 v2, 0, 1, vcc
	v_add_u32_e32 v7, 0xfffffc10, v7
	v_or_b32_e32 v2, v10, v2
	v_lshl_or_b32 v9, v7, 12, v0
	v_cmp_gt_i32_e32 vcc, 1, v7
	v_cndmask_b32_e32 v2, v9, v2, vcc
	v_and_b32_e32 v9, 7, v2
	v_cmp_lt_i32_e32 vcc, 5, v9
	v_cmp_eq_u32_e64 s[0:1], 3, v9
	v_lshrrev_b32_e32 v2, 2, v2
	s_or_b64 vcc, s[0:1], vcc
	v_addc_co_u32_e32 v8, vcc, 0, v2, vcc
	v_cvt_f64_f32_e32 v[2:3], v3
	v_cmp_gt_i32_e32 vcc, 31, v7
	v_cndmask_b32_e32 v8, v11, v8, vcc
	v_cmp_ne_u32_e32 vcc, 0, v0
	v_mul_f64 v[2:3], v[2:3], s[2:3]
	v_cndmask_b32_e64 v0, 0, 1, vcc
	v_lshl_or_b32 v0, v0, 9, v11
	v_cmp_eq_u32_e32 vcc, s10, v7
	v_cndmask_b32_e32 v0, v8, v0, vcc
	v_lshrrev_b32_e32 v1, 16, v1
	s_mov_b32 s11, 0x8000
	v_and_or_b32 v9, v1, s11, v0
	v_and_or_b32 v0, v3, s6, v2
	v_cmp_ne_u32_e32 vcc, 0, v0
	v_cndmask_b32_e64 v0, 0, 1, vcc
	v_lshrrev_b32_e32 v1, 8, v3
	v_bfe_u32 v2, v3, 20, 11
	v_and_or_b32 v0, v1, s7, v0
	v_sub_u32_e32 v7, 0x3f1, v2
	v_or_b32_e32 v1, 0x1000, v0
	v_med3_i32 v7, v7, 0, 13
	v_lshrrev_b32_e32 v8, v7, v1
	v_lshlrev_b32_e32 v7, v7, v8
	v_cmp_ne_u32_e32 vcc, v7, v1
	v_cndmask_b32_e64 v1, 0, 1, vcc
	v_add_u32_e32 v2, 0xfffffc10, v2
	v_or_b32_e32 v1, v8, v1
	v_lshl_or_b32 v7, v2, 12, v0
	v_cmp_gt_i32_e32 vcc, 1, v2
	v_cndmask_b32_e32 v1, v7, v1, vcc
	v_and_b32_e32 v7, 7, v1
	v_cmp_lt_i32_e32 vcc, 5, v7
	v_cmp_eq_u32_e64 s[0:1], 3, v7
	v_lshrrev_b32_e32 v1, 2, v1
	s_or_b64 vcc, s[0:1], vcc
	s_waitcnt vmcnt(2)
	v_mad_u64_u32 v[7:8], s[0:1], s8, v13, 0
	v_addc_co_u32_e32 v1, vcc, 0, v1, vcc
	v_cmp_gt_i32_e32 vcc, 31, v2
	v_cndmask_b32_e32 v1, v11, v1, vcc
	v_cmp_ne_u32_e32 vcc, 0, v0
	v_cndmask_b32_e64 v0, 0, 1, vcc
	v_cmp_eq_u32_e32 vcc, s10, v2
	v_mov_b32_e32 v2, v8
	v_lshrrev_b32_e32 v12, 16, v3
	v_mad_u64_u32 v[2:3], s[0:1], s9, v13, v[2:3]
	v_lshl_or_b32 v0, v0, 9, v11
	v_cndmask_b32_e32 v10, v1, v0, vcc
	v_lshlrev_b64 v[5:6], 2, v[5:6]
	v_and_or_b32 v10, v12, s11, v10
	v_and_b32_e32 v9, 0xffff, v9
	v_mov_b32_e32 v8, v2
	v_lshl_or_b32 v9, v10, 16, v9
	v_mov_b32_e32 v10, s5
	v_add_co_u32_e32 v12, vcc, s4, v5
	v_addc_co_u32_e32 v10, vcc, v10, v6, vcc
	v_lshlrev_b64 v[5:6], 2, v[7:8]
	ds_read2_b32 v[0:1], v194 offset0:38 offset1:87
	v_add_co_u32_e32 v7, vcc, v12, v5
	buffer_load_dword v12, off, s[20:23], 0 offset:172 ; 4-byte Folded Reload
	v_addc_co_u32_e32 v8, vcc, v10, v6, vcc
	s_waitcnt lgkmcnt(0)
	v_lshrrev_b32_e32 v13, 16, v1
	v_mul_f16_sdwa v3, v196, v13 dst_sel:DWORD dst_unused:UNUSED_PAD src0_sel:WORD_1 src1_sel:DWORD
	v_fma_f16 v3, v196, v1, v3
	v_cvt_f32_f16_e32 v3, v3
	global_store_dword v[7:8], v9, off
	v_mul_f16_sdwa v1, v196, v1 dst_sel:DWORD dst_unused:UNUSED_PAD src0_sel:WORD_1 src1_sel:DWORD
	v_fma_f16 v1, v196, v13, -v1
	v_cvt_f64_f32_e32 v[2:3], v3
	v_cvt_f32_f16_e32 v1, v1
	s_mul_hi_u32 s4, s8, 0x55c
	s_mul_i32 s5, s8, 0x55c
	v_mul_f64 v[2:3], v[2:3], s[2:3]
	v_and_or_b32 v2, v3, s6, v2
	v_cmp_ne_u32_e32 vcc, 0, v2
	v_cndmask_b32_e64 v2, 0, 1, vcc
	v_lshrrev_b32_e32 v5, 8, v3
	v_bfe_u32 v6, v3, 20, 11
	v_and_or_b32 v5, v5, s7, v2
	v_sub_u32_e32 v9, 0x3f1, v6
	v_or_b32_e32 v2, 0x1000, v5
	v_med3_i32 v9, v9, 0, 13
	v_lshrrev_b32_e32 v10, v9, v2
	v_lshlrev_b32_e32 v9, v9, v10
	v_cmp_ne_u32_e32 vcc, v9, v2
	v_cndmask_b32_e64 v2, 0, 1, vcc
	v_add_u32_e32 v6, 0xfffffc10, v6
	v_or_b32_e32 v2, v10, v2
	v_lshl_or_b32 v9, v6, 12, v5
	v_cmp_gt_i32_e32 vcc, 1, v6
	v_cndmask_b32_e32 v2, v9, v2, vcc
	v_and_b32_e32 v9, 7, v2
	v_cmp_lt_i32_e32 vcc, 5, v9
	v_cmp_eq_u32_e64 s[0:1], 3, v9
	v_lshrrev_b32_e32 v9, 2, v2
	v_cvt_f64_f32_e32 v[1:2], v1
	s_or_b64 vcc, s[0:1], vcc
	v_addc_co_u32_e32 v9, vcc, 0, v9, vcc
	v_mul_f64 v[1:2], v[1:2], s[2:3]
	v_cmp_gt_i32_e32 vcc, 31, v6
	v_cndmask_b32_e32 v9, v11, v9, vcc
	v_cmp_ne_u32_e32 vcc, 0, v5
	v_cndmask_b32_e64 v5, 0, 1, vcc
	v_lshl_or_b32 v5, v5, 9, v11
	v_cmp_eq_u32_e32 vcc, s10, v6
	v_cndmask_b32_e32 v5, v9, v5, vcc
	v_and_or_b32 v1, v2, s6, v1
	v_lshrrev_b32_e32 v3, 16, v3
	v_cmp_ne_u32_e32 vcc, 0, v1
	v_and_or_b32 v3, v3, s11, v5
	v_cndmask_b32_e64 v1, 0, 1, vcc
	v_lshrrev_b32_e32 v5, 8, v2
	v_bfe_u32 v6, v2, 20, 11
	v_and_or_b32 v1, v5, s7, v1
	v_sub_u32_e32 v9, 0x3f1, v6
	v_or_b32_e32 v5, 0x1000, v1
	v_med3_i32 v9, v9, 0, 13
	v_lshrrev_b32_e32 v10, v9, v5
	v_lshlrev_b32_e32 v9, v9, v10
	v_cmp_ne_u32_e32 vcc, v9, v5
	v_cndmask_b32_e64 v5, 0, 1, vcc
	v_add_u32_e32 v9, 0xfffffc10, v6
	v_or_b32_e32 v5, v10, v5
	v_lshl_or_b32 v6, v9, 12, v1
	v_cmp_gt_i32_e32 vcc, 1, v9
	v_cndmask_b32_e32 v5, v6, v5, vcc
	v_and_b32_e32 v6, 7, v5
	v_cmp_lt_i32_e32 vcc, 5, v6
	v_cmp_eq_u32_e64 s[0:1], 3, v6
	v_lshrrev_b32_e32 v5, 2, v5
	s_or_b64 vcc, s[0:1], vcc
	v_addc_co_u32_e32 v5, vcc, 0, v5, vcc
	v_cmp_gt_i32_e32 vcc, 31, v9
	v_cndmask_b32_e32 v10, v11, v5, vcc
	ds_read2_b32 v[5:6], v185 offset0:174 offset1:223
	v_cmp_ne_u32_e32 vcc, 0, v1
	v_cndmask_b32_e64 v1, 0, 1, vcc
	v_lshl_or_b32 v1, v1, 9, v11
	v_cmp_eq_u32_e32 vcc, s10, v9
	s_waitcnt lgkmcnt(0)
	v_lshrrev_b32_e32 v9, 16, v5
	v_cndmask_b32_e32 v1, v10, v1, vcc
	s_waitcnt vmcnt(1)
	v_mul_f16_sdwa v10, v12, v9 dst_sel:DWORD dst_unused:UNUSED_PAD src0_sel:WORD_1 src1_sel:DWORD
	v_fma_f16 v10, v12, v5, v10
	v_cvt_f32_f16_e32 v10, v10
	v_lshrrev_b32_e32 v2, 16, v2
	v_and_or_b32 v1, v2, s11, v1
	v_and_b32_e32 v2, 0xffff, v3
	v_lshl_or_b32 v3, v1, 16, v2
	v_cvt_f64_f32_e32 v[1:2], v10
	s_mul_i32 s0, s9, 0x55c
	s_add_i32 s4, s4, s0
	v_mov_b32_e32 v10, s4
	v_mul_f64 v[1:2], v[1:2], s[2:3]
	v_add_co_u32_e32 v7, vcc, s5, v7
	v_addc_co_u32_e32 v8, vcc, v8, v10, vcc
	global_store_dword v[7:8], v3, off
	v_mov_b32_e32 v14, v12
	v_mul_f16_sdwa v5, v14, v5 dst_sel:DWORD dst_unused:UNUSED_PAD src0_sel:WORD_1 src1_sel:DWORD
	v_and_or_b32 v1, v2, s6, v1
	v_cmp_ne_u32_e32 vcc, 0, v1
	v_cndmask_b32_e64 v1, 0, 1, vcc
	v_lshrrev_b32_e32 v3, 8, v2
	v_bfe_u32 v10, v2, 20, 11
	v_and_or_b32 v1, v3, s7, v1
	v_sub_u32_e32 v12, 0x3f1, v10
	v_or_b32_e32 v3, 0x1000, v1
	v_med3_i32 v12, v12, 0, 13
	v_lshrrev_b32_e32 v13, v12, v3
	v_lshlrev_b32_e32 v12, v12, v13
	v_cmp_ne_u32_e32 vcc, v12, v3
	v_fma_f16 v5, v14, v9, -v5
	v_cndmask_b32_e64 v3, 0, 1, vcc
	v_add_u32_e32 v12, 0xfffffc10, v10
	v_cvt_f32_f16_e32 v5, v5
	v_or_b32_e32 v3, v13, v3
	v_lshl_or_b32 v10, v12, 12, v1
	v_cmp_gt_i32_e32 vcc, 1, v12
	v_cndmask_b32_e32 v3, v10, v3, vcc
	v_and_b32_e32 v10, 7, v3
	v_cmp_lt_i32_e32 vcc, 5, v10
	v_cmp_eq_u32_e64 s[0:1], 3, v10
	v_cvt_f64_f32_e32 v[9:10], v5
	v_lshrrev_b32_e32 v3, 2, v3
	s_or_b64 vcc, s[0:1], vcc
	v_addc_co_u32_e32 v3, vcc, 0, v3, vcc
	v_mul_f64 v[9:10], v[9:10], s[2:3]
	v_cmp_gt_i32_e32 vcc, 31, v12
	v_cndmask_b32_e32 v3, v11, v3, vcc
	v_cmp_ne_u32_e32 vcc, 0, v1
	v_cndmask_b32_e64 v1, 0, 1, vcc
	v_lshl_or_b32 v1, v1, 9, v11
	v_cmp_eq_u32_e32 vcc, s10, v12
	v_cndmask_b32_e32 v1, v3, v1, vcc
	v_lshrrev_b32_e32 v2, 16, v2
	v_and_or_b32 v3, v2, s11, v1
	v_and_or_b32 v1, v10, s6, v9
	v_cmp_ne_u32_e32 vcc, 0, v1
	v_cndmask_b32_e64 v1, 0, 1, vcc
	v_lshrrev_b32_e32 v2, 8, v10
	v_and_or_b32 v5, v2, s7, v1
	v_bfe_u32 v2, v10, 20, 11
	v_sub_u32_e32 v9, 0x3f1, v2
	v_or_b32_e32 v1, 0x1000, v5
	v_med3_i32 v9, v9, 0, 13
	v_lshrrev_b32_e32 v12, v9, v1
	v_lshlrev_b32_e32 v9, v9, v12
	v_cmp_ne_u32_e32 vcc, v9, v1
	v_cndmask_b32_e64 v1, 0, 1, vcc
	v_add_u32_e32 v9, 0xfffffc10, v2
	v_or_b32_e32 v1, v12, v1
	v_lshl_or_b32 v2, v9, 12, v5
	v_cmp_gt_i32_e32 vcc, 1, v9
	v_cndmask_b32_e32 v1, v2, v1, vcc
	v_and_b32_e32 v2, 7, v1
	v_cmp_lt_i32_e32 vcc, 5, v2
	v_cmp_eq_u32_e64 s[0:1], 3, v2
	v_lshrrev_b32_e32 v1, 2, v1
	s_or_b64 vcc, s[0:1], vcc
	v_addc_co_u32_e32 v12, vcc, 0, v1, vcc
	ds_read2_b32 v[1:2], v158 offset0:84 offset1:133
	v_cmp_gt_i32_e32 vcc, 31, v9
	v_cndmask_b32_e32 v12, v11, v12, vcc
	v_cmp_ne_u32_e32 vcc, 0, v5
	v_cndmask_b32_e64 v5, 0, 1, vcc
	s_waitcnt lgkmcnt(0)
	v_lshrrev_b32_e32 v14, 16, v2
	v_mul_f16_sdwa v13, v199, v14 dst_sel:DWORD dst_unused:UNUSED_PAD src0_sel:WORD_1 src1_sel:DWORD
	v_fma_f16 v13, v199, v2, v13
	v_cvt_f32_f16_e32 v13, v13
	v_lshl_or_b32 v5, v5, 9, v11
	v_cmp_eq_u32_e32 vcc, s10, v9
	v_cndmask_b32_e32 v5, v12, v5, vcc
	v_cvt_f64_f32_e32 v[12:13], v13
	v_lshrrev_b32_e32 v9, 16, v10
	v_and_or_b32 v5, v9, s11, v5
	v_and_b32_e32 v3, 0xffff, v3
	v_mul_f64 v[9:10], v[12:13], s[2:3]
	v_lshl_or_b32 v3, v5, 16, v3
	v_mov_b32_e32 v5, s4
	v_add_co_u32_e32 v12, vcc, s5, v7
	v_addc_co_u32_e32 v13, vcc, v8, v5, vcc
	global_store_dword v[12:13], v3, off
	v_and_or_b32 v3, v10, s6, v9
	v_cmp_ne_u32_e32 vcc, 0, v3
	v_cndmask_b32_e64 v3, 0, 1, vcc
	v_lshrrev_b32_e32 v5, 8, v10
	v_bfe_u32 v7, v10, 20, 11
	v_and_or_b32 v5, v5, s7, v3
	v_sub_u32_e32 v8, 0x3f1, v7
	v_or_b32_e32 v3, 0x1000, v5
	v_med3_i32 v8, v8, 0, 13
	v_lshrrev_b32_e32 v9, v8, v3
	v_lshlrev_b32_e32 v8, v8, v9
	v_mul_f16_sdwa v2, v199, v2 dst_sel:DWORD dst_unused:UNUSED_PAD src0_sel:WORD_1 src1_sel:DWORD
	v_cmp_ne_u32_e32 vcc, v8, v3
	v_fma_f16 v2, v199, v14, -v2
	v_cndmask_b32_e64 v3, 0, 1, vcc
	v_add_u32_e32 v7, 0xfffffc10, v7
	v_cvt_f32_f16_e32 v2, v2
	v_or_b32_e32 v3, v9, v3
	v_lshl_or_b32 v8, v7, 12, v5
	v_cmp_gt_i32_e32 vcc, 1, v7
	v_cndmask_b32_e32 v3, v8, v3, vcc
	v_and_b32_e32 v8, 7, v3
	v_cmp_lt_i32_e32 vcc, 5, v8
	v_cmp_eq_u32_e64 s[0:1], 3, v8
	v_lshrrev_b32_e32 v8, 2, v3
	v_cvt_f64_f32_e32 v[2:3], v2
	s_or_b64 vcc, s[0:1], vcc
	v_addc_co_u32_e32 v8, vcc, 0, v8, vcc
	v_mul_f64 v[2:3], v[2:3], s[2:3]
	v_cmp_gt_i32_e32 vcc, 31, v7
	v_cndmask_b32_e32 v8, v11, v8, vcc
	v_cmp_ne_u32_e32 vcc, 0, v5
	v_cndmask_b32_e64 v5, 0, 1, vcc
	v_lshl_or_b32 v5, v5, 9, v11
	v_cmp_eq_u32_e32 vcc, s10, v7
	v_cndmask_b32_e32 v5, v8, v5, vcc
	v_and_or_b32 v2, v3, s6, v2
	v_lshrrev_b32_e32 v7, 16, v10
	v_cmp_ne_u32_e32 vcc, 0, v2
	v_and_or_b32 v5, v7, s11, v5
	v_cndmask_b32_e64 v2, 0, 1, vcc
	v_lshrrev_b32_e32 v7, 8, v3
	v_bfe_u32 v8, v3, 20, 11
	v_and_or_b32 v2, v7, s7, v2
	v_sub_u32_e32 v9, 0x3f1, v8
	v_or_b32_e32 v7, 0x1000, v2
	v_med3_i32 v9, v9, 0, 13
	v_lshrrev_b32_e32 v10, v9, v7
	v_lshlrev_b32_e32 v9, v9, v10
	v_cmp_ne_u32_e32 vcc, v9, v7
	v_cndmask_b32_e64 v7, 0, 1, vcc
	v_add_u32_e32 v9, 0xfffffc10, v8
	v_or_b32_e32 v7, v10, v7
	v_lshl_or_b32 v8, v9, 12, v2
	v_cmp_gt_i32_e32 vcc, 1, v9
	v_cndmask_b32_e32 v7, v8, v7, vcc
	v_and_b32_e32 v8, 7, v7
	v_cmp_lt_i32_e32 vcc, 5, v8
	v_cmp_eq_u32_e64 s[0:1], 3, v8
	v_lshrrev_b32_e32 v7, 2, v7
	s_or_b64 vcc, s[0:1], vcc
	v_addc_co_u32_e32 v10, vcc, 0, v7, vcc
	ds_read2_b32 v[7:8], v188 offset0:92 offset1:141
	v_cmp_gt_i32_e32 vcc, 31, v9
	v_cndmask_b32_e32 v10, v11, v10, vcc
	v_cmp_ne_u32_e32 vcc, 0, v2
	v_cndmask_b32_e64 v2, 0, 1, vcc
	s_waitcnt lgkmcnt(0)
	v_lshrrev_b32_e32 v14, 16, v7
	v_mul_f16_sdwa v15, v16, v14 dst_sel:DWORD dst_unused:UNUSED_PAD src0_sel:WORD_1 src1_sel:DWORD
	v_fma_f16 v15, v16, v7, v15
	v_cvt_f32_f16_e32 v15, v15
	v_lshl_or_b32 v2, v2, 9, v11
	v_cmp_eq_u32_e32 vcc, s10, v9
	v_cndmask_b32_e32 v2, v10, v2, vcc
	v_cvt_f64_f32_e32 v[9:10], v15
	v_lshrrev_b32_e32 v3, 16, v3
	v_and_or_b32 v15, v3, s11, v2
	v_and_b32_e32 v5, 0xffff, v5
	v_mul_f64 v[2:3], v[9:10], s[2:3]
	v_mov_b32_e32 v10, s4
	v_add_co_u32_e32 v9, vcc, s5, v12
	v_addc_co_u32_e32 v10, vcc, v13, v10, vcc
	v_lshl_or_b32 v5, v15, 16, v5
	global_store_dword v[9:10], v5, off
	v_and_or_b32 v2, v3, s6, v2
	v_cmp_ne_u32_e32 vcc, 0, v2
	v_cndmask_b32_e64 v2, 0, 1, vcc
	v_lshrrev_b32_e32 v5, 8, v3
	v_bfe_u32 v12, v3, 20, 11
	v_and_or_b32 v2, v5, s7, v2
	v_sub_u32_e32 v13, 0x3f1, v12
	v_or_b32_e32 v5, 0x1000, v2
	v_med3_i32 v13, v13, 0, 13
	v_lshrrev_b32_e32 v15, v13, v5
	v_lshlrev_b32_e32 v13, v13, v15
	v_cmp_ne_u32_e32 vcc, v13, v5
	v_mul_f16_sdwa v7, v16, v7 dst_sel:DWORD dst_unused:UNUSED_PAD src0_sel:WORD_1 src1_sel:DWORD
	v_cndmask_b32_e64 v5, 0, 1, vcc
	v_fma_f16 v7, v16, v14, -v7
	v_or_b32_e32 v5, v15, v5
	v_add_u32_e32 v15, 0xfffffc10, v12
	v_cvt_f32_f16_e32 v7, v7
	v_lshl_or_b32 v12, v15, 12, v2
	v_cmp_gt_i32_e32 vcc, 1, v15
	v_cndmask_b32_e32 v5, v12, v5, vcc
	v_and_b32_e32 v12, 7, v5
	v_cmp_lt_i32_e32 vcc, 5, v12
	v_cmp_eq_u32_e64 s[0:1], 3, v12
	v_cvt_f64_f32_e32 v[12:13], v7
	v_lshrrev_b32_e32 v5, 2, v5
	s_or_b64 vcc, s[0:1], vcc
	v_addc_co_u32_e32 v5, vcc, 0, v5, vcc
	v_mul_f64 v[12:13], v[12:13], s[2:3]
	v_cmp_gt_i32_e32 vcc, 31, v15
	v_cndmask_b32_e32 v5, v11, v5, vcc
	v_cmp_ne_u32_e32 vcc, 0, v2
	v_cndmask_b32_e64 v2, 0, 1, vcc
	v_lshl_or_b32 v2, v2, 9, v11
	v_cmp_eq_u32_e32 vcc, s10, v15
	v_cndmask_b32_e32 v2, v5, v2, vcc
	v_lshrrev_b32_e32 v3, 16, v3
	v_and_or_b32 v5, v3, s11, v2
	v_and_or_b32 v2, v13, s6, v12
	v_cmp_ne_u32_e32 vcc, 0, v2
	v_cndmask_b32_e64 v2, 0, 1, vcc
	v_lshrrev_b32_e32 v3, 8, v13
	v_and_or_b32 v7, v3, s7, v2
	v_bfe_u32 v3, v13, 20, 11
	v_sub_u32_e32 v12, 0x3f1, v3
	v_or_b32_e32 v2, 0x1000, v7
	v_med3_i32 v12, v12, 0, 13
	v_lshrrev_b32_e32 v14, v12, v2
	v_lshlrev_b32_e32 v12, v12, v14
	v_cmp_ne_u32_e32 vcc, v12, v2
	v_cndmask_b32_e64 v2, 0, 1, vcc
	v_add_u32_e32 v12, 0xfffffc10, v3
	v_or_b32_e32 v2, v14, v2
	v_lshl_or_b32 v3, v12, 12, v7
	v_cmp_gt_i32_e32 vcc, 1, v12
	v_cndmask_b32_e32 v2, v3, v2, vcc
	v_and_b32_e32 v3, 7, v2
	v_cmp_lt_i32_e32 vcc, 5, v3
	v_cmp_eq_u32_e64 s[0:1], 3, v3
	v_lshrrev_b32_e32 v2, 2, v2
	s_or_b64 vcc, s[0:1], vcc
	v_addc_co_u32_e32 v14, vcc, 0, v2, vcc
	ds_read2_b32 v[2:3], v186 offset0:130 offset1:179
	v_cmp_gt_i32_e32 vcc, 31, v12
	v_cndmask_b32_e32 v14, v11, v14, vcc
	v_cmp_ne_u32_e32 vcc, 0, v7
	v_cndmask_b32_e64 v7, 0, 1, vcc
	s_waitcnt lgkmcnt(0)
	v_lshrrev_b32_e32 v16, 16, v3
	v_mul_f16_sdwa v15, v195, v16 dst_sel:DWORD dst_unused:UNUSED_PAD src0_sel:WORD_1 src1_sel:DWORD
	v_fma_f16 v15, v195, v3, v15
	v_cvt_f32_f16_e32 v15, v15
	v_lshl_or_b32 v7, v7, 9, v11
	v_cmp_eq_u32_e32 vcc, s10, v12
	v_cndmask_b32_e32 v7, v14, v7, vcc
	v_cvt_f64_f32_e32 v[14:15], v15
	v_lshrrev_b32_e32 v12, 16, v13
	v_and_or_b32 v7, v12, s11, v7
	v_and_b32_e32 v5, 0xffff, v5
	v_mul_f64 v[12:13], v[14:15], s[2:3]
	v_lshl_or_b32 v5, v7, 16, v5
	v_mov_b32_e32 v7, s4
	v_add_co_u32_e32 v14, vcc, s5, v9
	v_addc_co_u32_e32 v15, vcc, v10, v7, vcc
	global_store_dword v[14:15], v5, off
	v_and_or_b32 v5, v13, s6, v12
	v_cmp_ne_u32_e32 vcc, 0, v5
	v_cndmask_b32_e64 v5, 0, 1, vcc
	v_lshrrev_b32_e32 v7, 8, v13
	v_bfe_u32 v9, v13, 20, 11
	v_and_or_b32 v5, v7, s7, v5
	v_sub_u32_e32 v10, 0x3f1, v9
	v_or_b32_e32 v7, 0x1000, v5
	v_med3_i32 v10, v10, 0, 13
	v_lshrrev_b32_e32 v12, v10, v7
	v_lshlrev_b32_e32 v10, v10, v12
	v_cmp_ne_u32_e32 vcc, v10, v7
	v_mul_f16_sdwa v3, v195, v3 dst_sel:DWORD dst_unused:UNUSED_PAD src0_sel:WORD_1 src1_sel:DWORD
	v_cndmask_b32_e64 v7, 0, 1, vcc
	v_fma_f16 v3, v195, v16, -v3
	v_or_b32_e32 v7, v12, v7
	v_add_u32_e32 v12, 0xfffffc10, v9
	v_cvt_f32_f16_e32 v3, v3
	v_lshl_or_b32 v9, v12, 12, v5
	v_cmp_gt_i32_e32 vcc, 1, v12
	v_cndmask_b32_e32 v7, v9, v7, vcc
	v_and_b32_e32 v9, 7, v7
	v_cmp_lt_i32_e32 vcc, 5, v9
	v_cmp_eq_u32_e64 s[0:1], 3, v9
	v_cvt_f64_f32_e32 v[9:10], v3
	v_lshrrev_b32_e32 v7, 2, v7
	s_or_b64 vcc, s[0:1], vcc
	v_addc_co_u32_e32 v3, vcc, 0, v7, vcc
	v_mul_f64 v[16:17], v[9:10], s[2:3]
	v_cmp_gt_i32_e32 vcc, 31, v12
	v_cndmask_b32_e32 v3, v11, v3, vcc
	v_cmp_ne_u32_e32 vcc, 0, v5
	v_cndmask_b32_e64 v5, 0, 1, vcc
	v_lshl_or_b32 v5, v5, 9, v11
	v_cmp_eq_u32_e32 vcc, s10, v12
	v_cndmask_b32_e32 v3, v3, v5, vcc
	v_lshrrev_b32_e32 v5, 16, v13
	v_and_or_b32 v3, v5, s11, v3
	v_and_or_b32 v5, v17, s6, v16
	v_cmp_ne_u32_e32 vcc, 0, v5
	v_cndmask_b32_e64 v5, 0, 1, vcc
	v_lshrrev_b32_e32 v7, 8, v17
	v_bfe_u32 v9, v17, 20, 11
	v_and_or_b32 v5, v7, s7, v5
	v_sub_u32_e32 v10, 0x3f1, v9
	v_or_b32_e32 v7, 0x1000, v5
	v_med3_i32 v10, v10, 0, 13
	v_lshrrev_b32_e32 v12, v10, v7
	v_lshlrev_b32_e32 v10, v10, v12
	v_cmp_ne_u32_e32 vcc, v10, v7
	v_cndmask_b32_e64 v7, 0, 1, vcc
	v_or_b32_e32 v7, v12, v7
	v_add_u32_e32 v12, 0xfffffc10, v9
	v_lshl_or_b32 v9, v12, 12, v5
	v_cmp_gt_i32_e32 vcc, 1, v12
	v_cndmask_b32_e32 v7, v9, v7, vcc
	v_and_b32_e32 v9, 7, v7
	v_cmp_lt_i32_e32 vcc, 5, v9
	v_cmp_eq_u32_e64 s[0:1], 3, v9
	ds_read2_b32 v[9:10], v183 offset0:10 offset1:59
	v_lshrrev_b32_e32 v7, 2, v7
	s_or_b64 vcc, s[0:1], vcc
	v_addc_co_u32_e32 v7, vcc, 0, v7, vcc
	s_waitcnt lgkmcnt(0)
	v_lshrrev_b32_e32 v16, 16, v9
	v_mul_f16_sdwa v13, v18, v16 dst_sel:DWORD dst_unused:UNUSED_PAD src0_sel:WORD_1 src1_sel:DWORD
	v_fma_f16 v13, v18, v9, v13
	v_cvt_f32_f16_e32 v13, v13
	v_cmp_gt_i32_e32 vcc, 31, v12
	v_cndmask_b32_e32 v7, v11, v7, vcc
	v_cmp_ne_u32_e32 vcc, 0, v5
	v_cndmask_b32_e64 v5, 0, 1, vcc
	v_cmp_eq_u32_e32 vcc, s10, v12
	v_cvt_f64_f32_e32 v[12:13], v13
	v_lshl_or_b32 v5, v5, 9, v11
	v_cndmask_b32_e32 v5, v7, v5, vcc
	v_lshrrev_b32_e32 v7, 16, v17
	v_mul_f64 v[12:13], v[12:13], s[2:3]
	v_and_or_b32 v5, v7, s11, v5
	v_and_b32_e32 v3, 0xffff, v3
	v_lshl_or_b32 v3, v5, 16, v3
	v_mov_b32_e32 v5, s4
	v_add_co_u32_e32 v14, vcc, s5, v14
	v_addc_co_u32_e32 v15, vcc, v15, v5, vcc
	global_store_dword v[14:15], v3, off
	v_and_or_b32 v3, v13, s6, v12
	v_cmp_ne_u32_e32 vcc, 0, v3
	v_cndmask_b32_e64 v3, 0, 1, vcc
	v_lshrrev_b32_e32 v5, 8, v13
	v_bfe_u32 v7, v13, 20, 11
	v_and_or_b32 v3, v5, s7, v3
	v_sub_u32_e32 v12, 0x3f1, v7
	v_mul_f16_sdwa v9, v18, v9 dst_sel:DWORD dst_unused:UNUSED_PAD src0_sel:WORD_1 src1_sel:DWORD
	v_or_b32_e32 v5, 0x1000, v3
	v_med3_i32 v12, v12, 0, 13
	v_fma_f16 v9, v18, v16, -v9
	v_lshrrev_b32_e32 v17, v12, v5
	v_cvt_f32_f16_e32 v9, v9
	v_lshlrev_b32_e32 v12, v12, v17
	v_cmp_ne_u32_e32 vcc, v12, v5
	v_cndmask_b32_e64 v5, 0, 1, vcc
	v_or_b32_e32 v5, v17, v5
	v_add_u32_e32 v7, 0xfffffc10, v7
	v_cvt_f64_f32_e32 v[16:17], v9
	v_lshl_or_b32 v12, v7, 12, v3
	v_cmp_gt_i32_e32 vcc, 1, v7
	v_cndmask_b32_e32 v5, v12, v5, vcc
	v_and_b32_e32 v12, 7, v5
	v_cmp_lt_i32_e32 vcc, 5, v12
	v_cmp_eq_u32_e64 s[0:1], 3, v12
	v_mul_f64 v[16:17], v[16:17], s[2:3]
	v_lshrrev_b32_e32 v5, 2, v5
	s_or_b64 vcc, s[0:1], vcc
	v_addc_co_u32_e32 v5, vcc, 0, v5, vcc
	v_cmp_gt_i32_e32 vcc, 31, v7
	v_cndmask_b32_e32 v5, v11, v5, vcc
	v_cmp_ne_u32_e32 vcc, 0, v3
	v_cndmask_b32_e64 v3, 0, 1, vcc
	v_lshl_or_b32 v3, v3, 9, v11
	v_cmp_eq_u32_e32 vcc, s10, v7
	v_cndmask_b32_e32 v3, v5, v3, vcc
	v_lshrrev_b32_e32 v5, 16, v13
	v_and_or_b32 v3, v5, s11, v3
	v_and_or_b32 v5, v17, s6, v16
	v_cmp_ne_u32_e32 vcc, 0, v5
	v_cndmask_b32_e64 v5, 0, 1, vcc
	v_lshrrev_b32_e32 v7, 8, v17
	v_bfe_u32 v9, v17, 20, 11
	v_and_or_b32 v5, v7, s7, v5
	v_sub_u32_e32 v12, 0x3f1, v9
	v_or_b32_e32 v7, 0x1000, v5
	v_med3_i32 v12, v12, 0, 13
	v_lshrrev_b32_e32 v13, v12, v7
	v_lshlrev_b32_e32 v12, v12, v13
	v_cmp_ne_u32_e32 vcc, v12, v7
	v_cndmask_b32_e64 v7, 0, 1, vcc
	v_or_b32_e32 v7, v13, v7
	buffer_load_dword v13, off, s[20:23], 0 offset:160 ; 4-byte Folded Reload
	v_add_u32_e32 v9, 0xfffffc10, v9
	v_lshl_or_b32 v12, v9, 12, v5
	v_cmp_gt_i32_e32 vcc, 1, v9
	v_cndmask_b32_e32 v7, v12, v7, vcc
	v_and_b32_e32 v12, 7, v7
	v_lshrrev_b32_e32 v16, 16, v4
	v_cmp_lt_i32_e32 vcc, 5, v12
	v_cmp_eq_u32_e64 s[0:1], 3, v12
	v_lshrrev_b32_e32 v7, 2, v7
	s_or_b64 vcc, s[0:1], vcc
	v_addc_co_u32_e32 v7, vcc, 0, v7, vcc
	v_cmp_gt_i32_e32 vcc, 31, v9
	v_cndmask_b32_e32 v7, v11, v7, vcc
	v_cmp_ne_u32_e32 vcc, 0, v5
	v_cndmask_b32_e64 v5, 0, 1, vcc
	v_lshl_or_b32 v5, v5, 9, v11
	v_cmp_eq_u32_e32 vcc, s10, v9
	v_cndmask_b32_e32 v5, v7, v5, vcc
	v_lshrrev_b32_e32 v7, 16, v17
	v_and_or_b32 v5, v7, s11, v5
	v_and_b32_e32 v3, 0xffff, v3
	v_lshl_or_b32 v3, v5, 16, v3
	v_mov_b32_e32 v5, s4
	v_add_co_u32_e32 v14, vcc, s5, v14
	v_addc_co_u32_e32 v15, vcc, v15, v5, vcc
	global_store_dword v[14:15], v3, off
	s_waitcnt vmcnt(1)
	v_mul_f16_sdwa v12, v13, v16 dst_sel:DWORD dst_unused:UNUSED_PAD src0_sel:WORD_1 src1_sel:DWORD
	v_fma_f16 v12, v13, v4, v12
	v_cvt_f32_f16_e32 v12, v12
	v_mov_b32_e32 v18, v13
	v_mul_f16_sdwa v4, v18, v4 dst_sel:DWORD dst_unused:UNUSED_PAD src0_sel:WORD_1 src1_sel:DWORD
	v_fma_f16 v4, v18, v16, -v4
	v_cvt_f64_f32_e32 v[12:13], v12
	v_cvt_f32_f16_e32 v4, v4
	v_mul_f64 v[12:13], v[12:13], s[2:3]
	v_and_or_b32 v3, v13, s6, v12
	v_cmp_ne_u32_e32 vcc, 0, v3
	v_cndmask_b32_e64 v3, 0, 1, vcc
	v_lshrrev_b32_e32 v5, 8, v13
	v_bfe_u32 v7, v13, 20, 11
	v_and_or_b32 v5, v5, s7, v3
	v_sub_u32_e32 v9, 0x3f1, v7
	v_or_b32_e32 v3, 0x1000, v5
	v_med3_i32 v9, v9, 0, 13
	v_lshrrev_b32_e32 v12, v9, v3
	v_lshlrev_b32_e32 v9, v9, v12
	v_cmp_ne_u32_e32 vcc, v9, v3
	v_cndmask_b32_e64 v3, 0, 1, vcc
	v_add_u32_e32 v7, 0xfffffc10, v7
	v_or_b32_e32 v3, v12, v3
	v_lshl_or_b32 v9, v7, 12, v5
	v_cmp_gt_i32_e32 vcc, 1, v7
	v_cndmask_b32_e32 v3, v9, v3, vcc
	v_and_b32_e32 v9, 7, v3
	v_cmp_lt_i32_e32 vcc, 5, v9
	v_cmp_eq_u32_e64 s[0:1], 3, v9
	v_lshrrev_b32_e32 v9, 2, v3
	v_cvt_f64_f32_e32 v[3:4], v4
	s_or_b64 vcc, s[0:1], vcc
	v_addc_co_u32_e32 v9, vcc, 0, v9, vcc
	v_mul_f64 v[16:17], v[3:4], s[2:3]
	v_lshrrev_b32_e32 v4, 16, v13
	buffer_load_dword v13, off, s[20:23], 0 offset:148 ; 4-byte Folded Reload
	v_cmp_gt_i32_e32 vcc, 31, v7
	v_cndmask_b32_e32 v9, v11, v9, vcc
	v_cmp_ne_u32_e32 vcc, 0, v5
	v_cndmask_b32_e64 v3, 0, 1, vcc
	v_lshl_or_b32 v3, v3, 9, v11
	v_cmp_eq_u32_e32 vcc, s10, v7
	v_cndmask_b32_e32 v3, v9, v3, vcc
	v_and_or_b32 v3, v4, s11, v3
	v_and_or_b32 v4, v17, s6, v16
	v_cmp_ne_u32_e32 vcc, 0, v4
	v_cndmask_b32_e64 v4, 0, 1, vcc
	v_lshrrev_b32_e32 v5, 8, v17
	v_bfe_u32 v7, v17, 20, 11
	v_and_or_b32 v4, v5, s7, v4
	v_sub_u32_e32 v9, 0x3f1, v7
	v_or_b32_e32 v5, 0x1000, v4
	v_med3_i32 v9, v9, 0, 13
	v_lshrrev_b32_e32 v12, v9, v5
	v_lshlrev_b32_e32 v9, v9, v12
	v_cmp_ne_u32_e32 vcc, v9, v5
	v_cndmask_b32_e64 v5, 0, 1, vcc
	v_add_u32_e32 v7, 0xfffffc10, v7
	v_or_b32_e32 v5, v12, v5
	v_lshl_or_b32 v9, v7, 12, v4
	v_cmp_gt_i32_e32 vcc, 1, v7
	v_cndmask_b32_e32 v5, v9, v5, vcc
	v_and_b32_e32 v9, 7, v5
	v_cmp_lt_i32_e32 vcc, 5, v9
	v_cmp_eq_u32_e64 s[0:1], 3, v9
	v_lshrrev_b32_e32 v5, 2, v5
	s_or_b64 vcc, s[0:1], vcc
	v_addc_co_u32_e32 v5, vcc, 0, v5, vcc
	v_cmp_gt_i32_e32 vcc, 31, v7
	v_cndmask_b32_e32 v9, v11, v5, vcc
	v_cmp_ne_u32_e32 vcc, 0, v4
	v_cndmask_b32_e64 v4, 0, 1, vcc
	v_lshl_or_b32 v12, v4, 9, v11
	ds_read2_b32 v[4:5], v194 offset0:136 offset1:185
	v_cmp_eq_u32_e32 vcc, s10, v7
	v_cndmask_b32_e32 v7, v9, v12, vcc
	v_lshrrev_b32_e32 v9, 16, v17
	v_and_or_b32 v7, v9, s11, v7
	s_waitcnt lgkmcnt(0)
	v_lshrrev_b32_e32 v9, 16, v4
	s_mul_hi_u32 s1, s8, 0xffffe09c
	s_mul_i32 s0, s9, 0xffffe09c
	s_sub_i32 s9, s1, s8
	v_and_b32_e32 v3, 0xffff, v3
	s_add_i32 s9, s9, s0
	s_mulk_i32 s8, 0xe09c
	v_lshl_or_b32 v3, v7, 16, v3
	v_mov_b32_e32 v7, s9
	v_add_co_u32_e32 v14, vcc, s8, v14
	v_addc_co_u32_e32 v15, vcc, v15, v7, vcc
	global_store_dword v[14:15], v3, off
	s_waitcnt vmcnt(1)
	v_mul_f16_sdwa v12, v13, v9 dst_sel:DWORD dst_unused:UNUSED_PAD src0_sel:WORD_1 src1_sel:DWORD
	v_fma_f16 v12, v13, v4, v12
	v_cvt_f32_f16_e32 v12, v12
	v_mov_b32_e32 v18, v13
	v_mul_f16_sdwa v4, v18, v4 dst_sel:DWORD dst_unused:UNUSED_PAD src0_sel:WORD_1 src1_sel:DWORD
	v_fma_f16 v4, v18, v9, -v4
	v_cvt_f64_f32_e32 v[12:13], v12
	v_cvt_f32_f16_e32 v4, v4
	buffer_load_dword v18, off, s[20:23], 0 offset:144 ; 4-byte Folded Reload
	v_mul_f64 v[12:13], v[12:13], s[2:3]
	v_and_or_b32 v3, v13, s6, v12
	v_cmp_ne_u32_e32 vcc, 0, v3
	v_cndmask_b32_e64 v3, 0, 1, vcc
	v_lshrrev_b32_e32 v7, 8, v13
	v_bfe_u32 v12, v13, 20, 11
	v_and_or_b32 v7, v7, s7, v3
	v_sub_u32_e32 v16, 0x3f1, v12
	v_or_b32_e32 v3, 0x1000, v7
	v_med3_i32 v16, v16, 0, 13
	v_lshrrev_b32_e32 v17, v16, v3
	v_lshlrev_b32_e32 v16, v16, v17
	v_cmp_ne_u32_e32 vcc, v16, v3
	v_cndmask_b32_e64 v3, 0, 1, vcc
	v_add_u32_e32 v12, 0xfffffc10, v12
	v_or_b32_e32 v3, v17, v3
	v_lshl_or_b32 v16, v12, 12, v7
	v_cmp_gt_i32_e32 vcc, 1, v12
	v_cndmask_b32_e32 v3, v16, v3, vcc
	v_and_b32_e32 v16, 7, v3
	v_lshrrev_b32_e32 v9, 2, v3
	v_cvt_f64_f32_e32 v[3:4], v4
	v_cmp_lt_i32_e32 vcc, 5, v16
	v_cmp_eq_u32_e64 s[0:1], 3, v16
	s_or_b64 vcc, s[0:1], vcc
	v_mul_f64 v[3:4], v[3:4], s[2:3]
	v_addc_co_u32_e32 v9, vcc, 0, v9, vcc
	v_cmp_gt_i32_e32 vcc, 31, v12
	v_cndmask_b32_e32 v9, v11, v9, vcc
	v_cmp_ne_u32_e32 vcc, 0, v7
	v_cndmask_b32_e64 v7, 0, 1, vcc
	v_lshl_or_b32 v7, v7, 9, v11
	v_cmp_eq_u32_e32 vcc, s10, v12
	v_and_or_b32 v3, v4, s6, v3
	v_cndmask_b32_e32 v7, v9, v7, vcc
	v_lshrrev_b32_e32 v9, 16, v13
	v_cmp_ne_u32_e32 vcc, 0, v3
	v_and_or_b32 v7, v9, s11, v7
	v_cndmask_b32_e64 v3, 0, 1, vcc
	v_lshrrev_b32_e32 v9, 8, v4
	v_bfe_u32 v12, v4, 20, 11
	v_and_or_b32 v3, v9, s7, v3
	v_sub_u32_e32 v13, 0x3f1, v12
	v_or_b32_e32 v9, 0x1000, v3
	v_med3_i32 v13, v13, 0, 13
	v_lshrrev_b32_e32 v16, v13, v9
	v_lshlrev_b32_e32 v13, v13, v16
	v_cmp_ne_u32_e32 vcc, v13, v9
	v_cndmask_b32_e64 v9, 0, 1, vcc
	v_add_u32_e32 v12, 0xfffffc10, v12
	v_or_b32_e32 v9, v16, v9
	v_lshl_or_b32 v13, v12, 12, v3
	v_cmp_gt_i32_e32 vcc, 1, v12
	v_cndmask_b32_e32 v9, v13, v9, vcc
	v_and_b32_e32 v13, 7, v9
	v_lshrrev_b32_e32 v16, 16, v6
	v_cmp_lt_i32_e32 vcc, 5, v13
	v_cmp_eq_u32_e64 s[0:1], 3, v13
	v_mul_f16_sdwa v13, v207, v16 dst_sel:DWORD dst_unused:UNUSED_PAD src0_sel:WORD_1 src1_sel:DWORD
	v_fma_f16 v13, v207, v6, v13
	v_lshrrev_b32_e32 v9, 2, v9
	s_or_b64 vcc, s[0:1], vcc
	v_cvt_f32_f16_e32 v13, v13
	v_addc_co_u32_e32 v9, vcc, 0, v9, vcc
	v_cmp_gt_i32_e32 vcc, 31, v12
	v_cndmask_b32_e32 v9, v11, v9, vcc
	v_cmp_ne_u32_e32 vcc, 0, v3
	v_cndmask_b32_e64 v3, 0, 1, vcc
	v_cmp_eq_u32_e32 vcc, s10, v12
	v_cvt_f64_f32_e32 v[12:13], v13
	v_lshl_or_b32 v3, v3, 9, v11
	v_cndmask_b32_e32 v3, v9, v3, vcc
	v_lshrrev_b32_e32 v4, 16, v4
	v_and_or_b32 v9, v4, s11, v3
	v_mul_f64 v[3:4], v[12:13], s[2:3]
	v_and_b32_e32 v7, 0xffff, v7
	v_lshl_or_b32 v7, v9, 16, v7
	v_mov_b32_e32 v9, s4
	v_add_co_u32_e32 v12, vcc, s5, v14
	v_addc_co_u32_e32 v13, vcc, v15, v9, vcc
	v_and_or_b32 v3, v4, s6, v3
	v_cmp_ne_u32_e32 vcc, 0, v3
	global_store_dword v[12:13], v7, off
	v_cndmask_b32_e64 v3, 0, 1, vcc
	v_lshrrev_b32_e32 v7, 8, v4
	v_bfe_u32 v9, v4, 20, 11
	v_and_or_b32 v3, v7, s7, v3
	v_sub_u32_e32 v14, 0x3f1, v9
	v_or_b32_e32 v7, 0x1000, v3
	v_med3_i32 v14, v14, 0, 13
	v_lshrrev_b32_e32 v15, v14, v7
	v_lshlrev_b32_e32 v14, v14, v15
	v_mul_f16_sdwa v6, v207, v6 dst_sel:DWORD dst_unused:UNUSED_PAD src0_sel:WORD_1 src1_sel:DWORD
	v_cmp_ne_u32_e32 vcc, v14, v7
	v_fma_f16 v6, v207, v16, -v6
	v_cndmask_b32_e64 v7, 0, 1, vcc
	v_add_u32_e32 v9, 0xfffffc10, v9
	v_cvt_f32_f16_e32 v6, v6
	v_or_b32_e32 v7, v15, v7
	v_lshl_or_b32 v14, v9, 12, v3
	v_cmp_gt_i32_e32 vcc, 1, v9
	v_cndmask_b32_e32 v7, v14, v7, vcc
	v_and_b32_e32 v14, 7, v7
	v_cmp_lt_i32_e32 vcc, 5, v14
	v_cmp_eq_u32_e64 s[0:1], 3, v14
	v_lshrrev_b32_e32 v14, 2, v7
	v_cvt_f64_f32_e32 v[6:7], v6
	s_or_b64 vcc, s[0:1], vcc
	v_addc_co_u32_e32 v14, vcc, 0, v14, vcc
	v_cmp_gt_i32_e32 vcc, 31, v9
	v_cndmask_b32_e32 v16, v11, v14, vcc
	v_mul_f64 v[14:15], v[6:7], s[2:3]
	v_cmp_ne_u32_e32 vcc, 0, v3
	v_cndmask_b32_e64 v3, 0, 1, vcc
	v_lshl_or_b32 v3, v3, 9, v11
	v_cmp_eq_u32_e32 vcc, s10, v9
	v_cndmask_b32_e32 v3, v16, v3, vcc
	v_lshrrev_b32_e32 v4, 16, v4
	v_and_or_b32 v9, v4, s11, v3
	v_and_or_b32 v3, v15, s6, v14
	v_cmp_ne_u32_e32 vcc, 0, v3
	v_cndmask_b32_e64 v3, 0, 1, vcc
	v_lshrrev_b32_e32 v4, 8, v15
	v_bfe_u32 v6, v15, 20, 11
	v_and_or_b32 v3, v4, s7, v3
	v_sub_u32_e32 v7, 0x3f1, v6
	v_or_b32_e32 v4, 0x1000, v3
	v_med3_i32 v7, v7, 0, 13
	v_lshrrev_b32_e32 v14, v7, v4
	v_lshlrev_b32_e32 v7, v7, v14
	v_cmp_ne_u32_e32 vcc, v7, v4
	v_cndmask_b32_e64 v4, 0, 1, vcc
	v_or_b32_e32 v4, v14, v4
	v_add_u32_e32 v14, 0xfffffc10, v6
	v_lshl_or_b32 v6, v14, 12, v3
	v_cmp_gt_i32_e32 vcc, 1, v14
	v_cndmask_b32_e32 v4, v6, v4, vcc
	v_and_b32_e32 v6, 7, v4
	v_cmp_lt_i32_e32 vcc, 5, v6
	v_cmp_eq_u32_e64 s[0:1], 3, v6
	ds_read2_b32 v[6:7], v187 offset0:54 offset1:103
	v_lshrrev_b32_e32 v4, 2, v4
	s_or_b64 vcc, s[0:1], vcc
	v_addc_co_u32_e32 v4, vcc, 0, v4, vcc
	s_waitcnt lgkmcnt(0)
	v_lshrrev_b32_e32 v16, 16, v6
	s_waitcnt vmcnt(1)
	v_mul_f16_sdwa v17, v18, v16 dst_sel:DWORD dst_unused:UNUSED_PAD src0_sel:WORD_1 src1_sel:DWORD
	v_fma_f16 v17, v18, v6, v17
	v_cmp_gt_i32_e32 vcc, 31, v14
	v_cvt_f32_f16_e32 v17, v17
	v_cndmask_b32_e32 v4, v11, v4, vcc
	v_cmp_ne_u32_e32 vcc, 0, v3
	v_cndmask_b32_e64 v3, 0, 1, vcc
	v_lshl_or_b32 v3, v3, 9, v11
	v_cmp_eq_u32_e32 vcc, s10, v14
	v_cndmask_b32_e32 v14, v4, v3, vcc
	v_cvt_f64_f32_e32 v[3:4], v17
	v_lshrrev_b32_e32 v15, 16, v15
	v_and_or_b32 v14, v15, s11, v14
	v_and_b32_e32 v9, 0xffff, v9
	v_mul_f64 v[3:4], v[3:4], s[2:3]
	v_lshl_or_b32 v9, v14, 16, v9
	v_mov_b32_e32 v14, s4
	v_add_co_u32_e32 v12, vcc, s5, v12
	v_addc_co_u32_e32 v13, vcc, v13, v14, vcc
	global_store_dword v[12:13], v9, off
	v_and_or_b32 v3, v4, s6, v3
	v_cmp_ne_u32_e32 vcc, 0, v3
	v_cndmask_b32_e64 v3, 0, 1, vcc
	v_lshrrev_b32_e32 v9, 8, v4
	v_bfe_u32 v14, v4, 20, 11
	v_and_or_b32 v3, v9, s7, v3
	v_sub_u32_e32 v15, 0x3f1, v14
	v_or_b32_e32 v9, 0x1000, v3
	v_med3_i32 v15, v15, 0, 13
	v_lshrrev_b32_e32 v17, v15, v9
	v_lshlrev_b32_e32 v15, v15, v17
	v_cmp_ne_u32_e32 vcc, v15, v9
	v_cndmask_b32_e64 v9, 0, 1, vcc
	v_or_b32_e32 v9, v17, v9
	v_add_u32_e32 v17, 0xfffffc10, v14
	v_mul_f16_sdwa v6, v18, v6 dst_sel:DWORD dst_unused:UNUSED_PAD src0_sel:WORD_1 src1_sel:DWORD
	v_lshl_or_b32 v14, v17, 12, v3
	v_cmp_gt_i32_e32 vcc, 1, v17
	v_fma_f16 v6, v18, v16, -v6
	v_cndmask_b32_e32 v9, v14, v9, vcc
	v_cvt_f32_f16_e32 v6, v6
	v_and_b32_e32 v14, 7, v9
	v_cmp_lt_i32_e32 vcc, 5, v14
	v_cmp_eq_u32_e64 s[0:1], 3, v14
	v_lshrrev_b32_e32 v9, 2, v9
	s_or_b64 vcc, s[0:1], vcc
	v_cvt_f64_f32_e32 v[14:15], v6
	v_addc_co_u32_e32 v6, vcc, 0, v9, vcc
	v_cmp_gt_i32_e32 vcc, 31, v17
	v_cndmask_b32_e32 v6, v11, v6, vcc
	v_cmp_ne_u32_e32 vcc, 0, v3
	v_cndmask_b32_e64 v3, 0, 1, vcc
	v_cmp_eq_u32_e32 vcc, s10, v17
	buffer_load_dword v17, off, s[20:23], 0 offset:140 ; 4-byte Folded Reload
	v_mul_f64 v[14:15], v[14:15], s[2:3]
	buffer_load_dword v18, off, s[20:23], 0 offset:236 ; 4-byte Folded Reload
	v_lshl_or_b32 v3, v3, 9, v11
	v_cndmask_b32_e32 v3, v6, v3, vcc
	v_lshrrev_b32_e32 v4, 16, v4
	v_and_or_b32 v6, v4, s11, v3
	v_and_b32_e32 v6, 0xffff, v6
	v_and_or_b32 v3, v15, s6, v14
	v_cmp_ne_u32_e32 vcc, 0, v3
	v_cndmask_b32_e64 v3, 0, 1, vcc
	v_lshrrev_b32_e32 v4, 8, v15
	v_bfe_u32 v9, v15, 20, 11
	v_and_or_b32 v3, v4, s7, v3
	v_sub_u32_e32 v14, 0x3f1, v9
	v_or_b32_e32 v4, 0x1000, v3
	v_med3_i32 v14, v14, 0, 13
	v_lshrrev_b32_e32 v16, v14, v4
	v_lshlrev_b32_e32 v14, v14, v16
	v_cmp_ne_u32_e32 vcc, v14, v4
	v_cndmask_b32_e64 v4, 0, 1, vcc
	v_add_u32_e32 v9, 0xfffffc10, v9
	v_or_b32_e32 v4, v16, v4
	v_lshl_or_b32 v14, v9, 12, v3
	v_cmp_gt_i32_e32 vcc, 1, v9
	v_cndmask_b32_e32 v4, v14, v4, vcc
	v_and_b32_e32 v14, 7, v4
	v_cmp_lt_i32_e32 vcc, 5, v14
	v_cmp_eq_u32_e64 s[0:1], 3, v14
	v_lshrrev_b32_e32 v14, 16, v8
	v_lshrrev_b32_e32 v4, 2, v4
	s_or_b64 vcc, s[0:1], vcc
	v_addc_co_u32_e32 v4, vcc, 0, v4, vcc
	v_cmp_gt_i32_e32 vcc, 31, v9
	v_cndmask_b32_e32 v4, v11, v4, vcc
	v_cmp_ne_u32_e32 vcc, 0, v3
	v_cndmask_b32_e64 v3, 0, 1, vcc
	v_lshl_or_b32 v3, v3, 9, v11
	v_cmp_eq_u32_e32 vcc, s10, v9
	v_cndmask_b32_e32 v9, v4, v3, vcc
	v_lshrrev_b32_e32 v15, 16, v15
	v_and_or_b32 v9, v15, s11, v9
	v_lshl_or_b32 v6, v9, 16, v6
	v_mov_b32_e32 v9, s4
	v_add_co_u32_e32 v12, vcc, s5, v12
	v_addc_co_u32_e32 v13, vcc, v13, v9, vcc
	global_store_dword v[12:13], v6, off
	s_waitcnt vmcnt(2)
	v_mul_f16_sdwa v16, v17, v14 dst_sel:DWORD dst_unused:UNUSED_PAD src0_sel:WORD_1 src1_sel:DWORD
	v_fma_f16 v16, v17, v8, v16
	v_cvt_f32_f16_e32 v16, v16
	v_mul_f16_sdwa v8, v17, v8 dst_sel:DWORD dst_unused:UNUSED_PAD src0_sel:WORD_1 src1_sel:DWORD
	v_fma_f16 v8, v17, v14, -v8
	v_cvt_f32_f16_e32 v8, v8
	v_cvt_f64_f32_e32 v[3:4], v16
	v_mul_f64 v[3:4], v[3:4], s[2:3]
	v_and_or_b32 v3, v4, s6, v3
	v_cmp_ne_u32_e32 vcc, 0, v3
	v_cndmask_b32_e64 v3, 0, 1, vcc
	v_lshrrev_b32_e32 v6, 8, v4
	v_bfe_u32 v9, v4, 20, 11
	v_and_or_b32 v3, v6, s7, v3
	v_sub_u32_e32 v15, 0x3f1, v9
	v_or_b32_e32 v6, 0x1000, v3
	v_med3_i32 v15, v15, 0, 13
	v_lshrrev_b32_e32 v16, v15, v6
	v_lshlrev_b32_e32 v15, v15, v16
	v_cmp_ne_u32_e32 vcc, v15, v6
	v_cndmask_b32_e64 v6, 0, 1, vcc
	v_or_b32_e32 v6, v16, v6
	v_add_u32_e32 v16, 0xfffffc10, v9
	v_lshl_or_b32 v9, v16, 12, v3
	v_cmp_gt_i32_e32 vcc, 1, v16
	v_cndmask_b32_e32 v6, v9, v6, vcc
	v_and_b32_e32 v9, 7, v6
	v_cmp_lt_i32_e32 vcc, 5, v9
	v_cmp_eq_u32_e64 s[0:1], 3, v9
	v_cvt_f64_f32_e32 v[8:9], v8
	v_lshrrev_b32_e32 v6, 2, v6
	s_or_b64 vcc, s[0:1], vcc
	v_addc_co_u32_e32 v6, vcc, 0, v6, vcc
	v_mul_f64 v[14:15], v[8:9], s[2:3]
	v_cmp_gt_i32_e32 vcc, 31, v16
	v_cndmask_b32_e32 v6, v11, v6, vcc
	v_cmp_ne_u32_e32 vcc, 0, v3
	v_cndmask_b32_e64 v3, 0, 1, vcc
	v_lshl_or_b32 v3, v3, 9, v11
	v_cmp_eq_u32_e32 vcc, s10, v16
	v_cndmask_b32_e32 v3, v6, v3, vcc
	v_lshrrev_b32_e32 v4, 16, v4
	v_and_or_b32 v6, v4, s11, v3
	v_and_or_b32 v3, v15, s6, v14
	v_cmp_ne_u32_e32 vcc, 0, v3
	v_cndmask_b32_e64 v3, 0, 1, vcc
	v_lshrrev_b32_e32 v4, 8, v15
	v_bfe_u32 v8, v15, 20, 11
	v_and_or_b32 v3, v4, s7, v3
	v_sub_u32_e32 v9, 0x3f1, v8
	v_or_b32_e32 v4, 0x1000, v3
	v_med3_i32 v9, v9, 0, 13
	v_lshrrev_b32_e32 v14, v9, v4
	v_lshlrev_b32_e32 v9, v9, v14
	v_cmp_ne_u32_e32 vcc, v9, v4
	v_cndmask_b32_e64 v4, 0, 1, vcc
	v_or_b32_e32 v4, v14, v4
	v_add_u32_e32 v14, 0xfffffc10, v8
	v_lshl_or_b32 v8, v14, 12, v3
	v_cmp_gt_i32_e32 vcc, 1, v14
	v_cndmask_b32_e32 v4, v8, v4, vcc
	v_and_b32_e32 v8, 7, v4
	v_cmp_lt_i32_e32 vcc, 5, v8
	v_cmp_eq_u32_e64 s[0:1], 3, v8
	ds_read2_b32 v[8:9], v189 offset0:100 offset1:149
	v_lshrrev_b32_e32 v4, 2, v4
	s_or_b64 vcc, s[0:1], vcc
	v_addc_co_u32_e32 v4, vcc, 0, v4, vcc
	s_waitcnt lgkmcnt(0)
	v_lshrrev_b32_e32 v16, 16, v8
	s_waitcnt vmcnt(1)
	v_mul_f16_sdwa v17, v18, v16 dst_sel:DWORD dst_unused:UNUSED_PAD src0_sel:WORD_1 src1_sel:DWORD
	v_fma_f16 v17, v18, v8, v17
	v_cmp_gt_i32_e32 vcc, 31, v14
	v_cvt_f32_f16_e32 v17, v17
	v_cndmask_b32_e32 v4, v11, v4, vcc
	v_cmp_ne_u32_e32 vcc, 0, v3
	v_cndmask_b32_e64 v3, 0, 1, vcc
	v_lshl_or_b32 v3, v3, 9, v11
	v_cmp_eq_u32_e32 vcc, s10, v14
	v_cndmask_b32_e32 v14, v4, v3, vcc
	v_cvt_f64_f32_e32 v[3:4], v17
	v_lshrrev_b32_e32 v15, 16, v15
	v_and_or_b32 v14, v15, s11, v14
	v_and_b32_e32 v6, 0xffff, v6
	v_mul_f64 v[3:4], v[3:4], s[2:3]
	v_lshl_or_b32 v6, v14, 16, v6
	v_mov_b32_e32 v14, s4
	v_add_co_u32_e32 v12, vcc, s5, v12
	v_addc_co_u32_e32 v13, vcc, v13, v14, vcc
	global_store_dword v[12:13], v6, off
	v_and_or_b32 v3, v4, s6, v3
	v_cmp_ne_u32_e32 vcc, 0, v3
	v_cndmask_b32_e64 v3, 0, 1, vcc
	v_lshrrev_b32_e32 v6, 8, v4
	v_bfe_u32 v14, v4, 20, 11
	v_and_or_b32 v3, v6, s7, v3
	v_sub_u32_e32 v15, 0x3f1, v14
	v_or_b32_e32 v6, 0x1000, v3
	v_med3_i32 v15, v15, 0, 13
	v_lshrrev_b32_e32 v17, v15, v6
	v_lshlrev_b32_e32 v15, v15, v17
	v_cmp_ne_u32_e32 vcc, v15, v6
	v_cndmask_b32_e64 v6, 0, 1, vcc
	v_or_b32_e32 v6, v17, v6
	v_add_u32_e32 v17, 0xfffffc10, v14
	v_lshl_or_b32 v14, v17, 12, v3
	v_cmp_gt_i32_e32 vcc, 1, v17
	v_cndmask_b32_e32 v6, v14, v6, vcc
	v_and_b32_e32 v14, 7, v6
	v_cmp_lt_i32_e32 vcc, 5, v14
	v_cmp_eq_u32_e64 s[0:1], 3, v14
	v_lshrrev_b32_e32 v6, 2, v6
	s_or_b64 vcc, s[0:1], vcc
	v_addc_co_u32_e32 v6, vcc, 0, v6, vcc
	v_cmp_gt_i32_e32 vcc, 31, v17
	v_cndmask_b32_e32 v6, v11, v6, vcc
	v_cmp_ne_u32_e32 vcc, 0, v3
	v_cndmask_b32_e64 v3, 0, 1, vcc
	v_cmp_eq_u32_e32 vcc, s10, v17
	buffer_load_dword v17, off, s[20:23], 0 offset:136 ; 4-byte Folded Reload
	v_mul_f16_sdwa v8, v18, v8 dst_sel:DWORD dst_unused:UNUSED_PAD src0_sel:WORD_1 src1_sel:DWORD
	v_fma_f16 v8, v18, v16, -v8
	v_cvt_f32_f16_e32 v8, v8
	v_lshl_or_b32 v3, v3, 9, v11
	v_cndmask_b32_e32 v3, v6, v3, vcc
	v_lshrrev_b32_e32 v4, 16, v4
	v_cvt_f64_f32_e32 v[14:15], v8
	v_and_or_b32 v6, v4, s11, v3
	v_and_b32_e32 v6, 0xffff, v6
	v_mul_f64 v[14:15], v[14:15], s[2:3]
	v_and_or_b32 v3, v15, s6, v14
	v_cmp_ne_u32_e32 vcc, 0, v3
	v_cndmask_b32_e64 v3, 0, 1, vcc
	v_lshrrev_b32_e32 v4, 8, v15
	v_bfe_u32 v8, v15, 20, 11
	v_and_or_b32 v3, v4, s7, v3
	v_sub_u32_e32 v14, 0x3f1, v8
	v_or_b32_e32 v4, 0x1000, v3
	v_med3_i32 v14, v14, 0, 13
	v_lshrrev_b32_e32 v16, v14, v4
	v_lshlrev_b32_e32 v14, v14, v16
	v_cmp_ne_u32_e32 vcc, v14, v4
	v_cndmask_b32_e64 v4, 0, 1, vcc
	v_add_u32_e32 v8, 0xfffffc10, v8
	v_or_b32_e32 v4, v16, v4
	v_lshl_or_b32 v14, v8, 12, v3
	v_cmp_gt_i32_e32 vcc, 1, v8
	v_cndmask_b32_e32 v4, v14, v4, vcc
	v_and_b32_e32 v14, 7, v4
	v_cmp_lt_i32_e32 vcc, 5, v14
	v_cmp_eq_u32_e64 s[0:1], 3, v14
	v_lshrrev_b32_e32 v14, 16, v10
	v_lshrrev_b32_e32 v4, 2, v4
	s_or_b64 vcc, s[0:1], vcc
	v_addc_co_u32_e32 v4, vcc, 0, v4, vcc
	v_cmp_gt_i32_e32 vcc, 31, v8
	v_cndmask_b32_e32 v4, v11, v4, vcc
	v_cmp_ne_u32_e32 vcc, 0, v3
	v_cndmask_b32_e64 v3, 0, 1, vcc
	v_lshl_or_b32 v3, v3, 9, v11
	v_cmp_eq_u32_e32 vcc, s10, v8
	v_cndmask_b32_e32 v8, v4, v3, vcc
	v_lshrrev_b32_e32 v15, 16, v15
	v_and_or_b32 v8, v15, s11, v8
	v_lshl_or_b32 v6, v8, 16, v6
	v_mov_b32_e32 v8, s4
	v_add_co_u32_e32 v12, vcc, s5, v12
	v_addc_co_u32_e32 v13, vcc, v13, v8, vcc
	global_store_dword v[12:13], v6, off
	s_waitcnt vmcnt(1)
	v_mul_f16_sdwa v16, v17, v14 dst_sel:DWORD dst_unused:UNUSED_PAD src0_sel:WORD_1 src1_sel:DWORD
	v_fma_f16 v16, v17, v10, v16
	v_mul_f16_sdwa v10, v17, v10 dst_sel:DWORD dst_unused:UNUSED_PAD src0_sel:WORD_1 src1_sel:DWORD
	v_fma_f16 v10, v17, v14, -v10
	buffer_load_dword v17, off, s[20:23], 0 offset:132 ; 4-byte Folded Reload
	v_cvt_f32_f16_e32 v16, v16
	v_cvt_f32_f16_e32 v10, v10
	v_cvt_f64_f32_e32 v[3:4], v16
	v_mul_f64 v[3:4], v[3:4], s[2:3]
	v_and_or_b32 v3, v4, s6, v3
	v_cmp_ne_u32_e32 vcc, 0, v3
	v_cndmask_b32_e64 v3, 0, 1, vcc
	v_lshrrev_b32_e32 v6, 8, v4
	v_bfe_u32 v8, v4, 20, 11
	v_and_or_b32 v3, v6, s7, v3
	v_sub_u32_e32 v15, 0x3f1, v8
	v_or_b32_e32 v6, 0x1000, v3
	v_med3_i32 v15, v15, 0, 13
	v_lshrrev_b32_e32 v16, v15, v6
	v_lshlrev_b32_e32 v15, v15, v16
	v_cmp_ne_u32_e32 vcc, v15, v6
	v_cndmask_b32_e64 v6, 0, 1, vcc
	v_add_u32_e32 v8, 0xfffffc10, v8
	v_or_b32_e32 v6, v16, v6
	v_lshl_or_b32 v15, v8, 12, v3
	v_cmp_gt_i32_e32 vcc, 1, v8
	v_cndmask_b32_e32 v6, v15, v6, vcc
	v_and_b32_e32 v15, 7, v6
	v_cmp_lt_i32_e32 vcc, 5, v15
	v_cmp_eq_u32_e64 s[0:1], 3, v15
	v_cvt_f64_f32_e32 v[14:15], v10
	v_lshrrev_b32_e32 v6, 2, v6
	s_or_b64 vcc, s[0:1], vcc
	v_addc_co_u32_e32 v6, vcc, 0, v6, vcc
	v_mul_f64 v[14:15], v[14:15], s[2:3]
	v_cmp_gt_i32_e32 vcc, 31, v8
	v_cndmask_b32_e32 v6, v11, v6, vcc
	v_cmp_ne_u32_e32 vcc, 0, v3
	v_cndmask_b32_e64 v3, 0, 1, vcc
	v_lshl_or_b32 v3, v3, 9, v11
	v_cmp_eq_u32_e32 vcc, s10, v8
	v_cndmask_b32_e32 v3, v6, v3, vcc
	v_lshrrev_b32_e32 v4, 16, v4
	v_and_or_b32 v6, v4, s11, v3
	v_and_or_b32 v3, v15, s6, v14
	v_cmp_ne_u32_e32 vcc, 0, v3
	v_cndmask_b32_e64 v3, 0, 1, vcc
	v_lshrrev_b32_e32 v4, 8, v15
	v_and_or_b32 v8, v4, s7, v3
	v_bfe_u32 v4, v15, 20, 11
	v_sub_u32_e32 v10, 0x3f1, v4
	v_or_b32_e32 v3, 0x1000, v8
	v_med3_i32 v10, v10, 0, 13
	v_lshrrev_b32_e32 v14, v10, v3
	v_lshlrev_b32_e32 v10, v10, v14
	v_cmp_ne_u32_e32 vcc, v10, v3
	v_cndmask_b32_e64 v3, 0, 1, vcc
	v_add_u32_e32 v10, 0xfffffc10, v4
	v_or_b32_e32 v3, v14, v3
	v_lshl_or_b32 v4, v10, 12, v8
	v_cmp_gt_i32_e32 vcc, 1, v10
	v_cndmask_b32_e32 v3, v4, v3, vcc
	v_and_b32_e32 v4, 7, v3
	v_cmp_lt_i32_e32 vcc, 5, v4
	v_cmp_eq_u32_e64 s[0:1], 3, v4
	v_lshrrev_b32_e32 v3, 2, v3
	s_or_b64 vcc, s[0:1], vcc
	v_addc_co_u32_e32 v14, vcc, 0, v3, vcc
	ds_read2_b32 v[3:4], v134 offset0:98 offset1:147
	v_cmp_gt_i32_e32 vcc, 31, v10
	s_waitcnt vmcnt(0)
	v_mov_b32_e32 v19, v17
	v_cndmask_b32_e32 v14, v11, v14, vcc
	v_cmp_ne_u32_e32 vcc, 0, v8
	s_waitcnt lgkmcnt(0)
	v_lshrrev_b32_e32 v18, 16, v3
	v_mul_f16_sdwa v16, v17, v18 dst_sel:DWORD dst_unused:UNUSED_PAD src0_sel:WORD_1 src1_sel:DWORD
	v_fma_f16 v16, v17, v3, v16
	v_cvt_f32_f16_e32 v16, v16
	v_cndmask_b32_e64 v8, 0, 1, vcc
	v_lshl_or_b32 v8, v8, 9, v11
	v_cmp_eq_u32_e32 vcc, s10, v10
	v_cvt_f64_f32_e32 v[16:17], v16
	v_cndmask_b32_e32 v8, v14, v8, vcc
	v_lshrrev_b32_e32 v10, 16, v15
	v_and_or_b32 v8, v10, s11, v8
	v_mul_f64 v[14:15], v[16:17], s[2:3]
	v_and_b32_e32 v6, 0xffff, v6
	v_lshl_or_b32 v6, v8, 16, v6
	v_mov_b32_e32 v8, s4
	v_add_co_u32_e32 v12, vcc, s5, v12
	v_addc_co_u32_e32 v13, vcc, v13, v8, vcc
	global_store_dword v[12:13], v6, off
	v_and_or_b32 v6, v15, s6, v14
	v_cmp_ne_u32_e32 vcc, 0, v6
	v_cndmask_b32_e64 v6, 0, 1, vcc
	v_lshrrev_b32_e32 v8, 8, v15
	v_bfe_u32 v10, v15, 20, 11
	v_and_or_b32 v6, v8, s7, v6
	v_sub_u32_e32 v14, 0x3f1, v10
	v_mul_f16_sdwa v3, v19, v3 dst_sel:DWORD dst_unused:UNUSED_PAD src0_sel:WORD_1 src1_sel:DWORD
	v_or_b32_e32 v8, 0x1000, v6
	v_med3_i32 v14, v14, 0, 13
	v_fma_f16 v3, v19, v18, -v3
	v_lshrrev_b32_e32 v16, v14, v8
	v_cvt_f32_f16_e32 v3, v3
	v_lshlrev_b32_e32 v14, v14, v16
	v_cmp_ne_u32_e32 vcc, v14, v8
	v_cndmask_b32_e64 v8, 0, 1, vcc
	v_or_b32_e32 v8, v16, v8
	v_add_u32_e32 v10, 0xfffffc10, v10
	v_cvt_f64_f32_e32 v[16:17], v3
	v_lshl_or_b32 v14, v10, 12, v6
	v_cmp_gt_i32_e32 vcc, 1, v10
	v_cndmask_b32_e32 v8, v14, v8, vcc
	v_and_b32_e32 v14, 7, v8
	v_cmp_lt_i32_e32 vcc, 5, v14
	v_cmp_eq_u32_e64 s[0:1], 3, v14
	v_mul_f64 v[16:17], v[16:17], s[2:3]
	v_lshrrev_b32_e32 v8, 2, v8
	s_or_b64 vcc, s[0:1], vcc
	v_addc_co_u32_e32 v3, vcc, 0, v8, vcc
	v_cmp_gt_i32_e32 vcc, 31, v10
	v_cndmask_b32_e32 v3, v11, v3, vcc
	v_cmp_ne_u32_e32 vcc, 0, v6
	v_cndmask_b32_e64 v6, 0, 1, vcc
	v_lshl_or_b32 v6, v6, 9, v11
	v_cmp_eq_u32_e32 vcc, s10, v10
	v_cndmask_b32_e32 v3, v3, v6, vcc
	v_lshrrev_b32_e32 v6, 16, v15
	v_and_or_b32 v3, v6, s11, v3
	v_and_or_b32 v6, v17, s6, v16
	v_cmp_ne_u32_e32 vcc, 0, v6
	v_cndmask_b32_e64 v6, 0, 1, vcc
	v_lshrrev_b32_e32 v8, 8, v17
	v_bfe_u32 v10, v17, 20, 11
	v_and_or_b32 v6, v8, s7, v6
	v_sub_u32_e32 v14, 0x3f1, v10
	v_or_b32_e32 v8, 0x1000, v6
	v_med3_i32 v14, v14, 0, 13
	v_lshrrev_b32_e32 v15, v14, v8
	v_lshlrev_b32_e32 v14, v14, v15
	v_cmp_ne_u32_e32 vcc, v14, v8
	v_cndmask_b32_e64 v8, 0, 1, vcc
	v_or_b32_e32 v8, v15, v8
	buffer_load_dword v15, off, s[20:23], 0 offset:184 ; 4-byte Folded Reload
	v_add_u32_e32 v10, 0xfffffc10, v10
	v_lshl_or_b32 v14, v10, 12, v6
	v_cmp_gt_i32_e32 vcc, 1, v10
	v_cndmask_b32_e32 v8, v14, v8, vcc
	v_and_b32_e32 v14, 7, v8
	v_lshrrev_b32_e32 v16, 16, v5
	v_cmp_lt_i32_e32 vcc, 5, v14
	v_cmp_eq_u32_e64 s[0:1], 3, v14
	v_lshrrev_b32_e32 v8, 2, v8
	s_or_b64 vcc, s[0:1], vcc
	v_addc_co_u32_e32 v8, vcc, 0, v8, vcc
	v_cmp_gt_i32_e32 vcc, 31, v10
	v_cndmask_b32_e32 v8, v11, v8, vcc
	v_cmp_ne_u32_e32 vcc, 0, v6
	v_cndmask_b32_e64 v6, 0, 1, vcc
	v_lshl_or_b32 v6, v6, 9, v11
	v_cmp_eq_u32_e32 vcc, s10, v10
	v_cndmask_b32_e32 v6, v8, v6, vcc
	v_lshrrev_b32_e32 v8, 16, v17
	v_and_or_b32 v6, v8, s11, v6
	v_and_b32_e32 v3, 0xffff, v3
	v_lshl_or_b32 v3, v6, 16, v3
	v_mov_b32_e32 v6, s9
	v_add_co_u32_e32 v12, vcc, s8, v12
	v_addc_co_u32_e32 v13, vcc, v13, v6, vcc
	global_store_dword v[12:13], v3, off
	s_waitcnt vmcnt(1)
	v_mul_f16_sdwa v14, v15, v16 dst_sel:DWORD dst_unused:UNUSED_PAD src0_sel:WORD_1 src1_sel:DWORD
	v_mov_b32_e32 v18, v15
	v_fma_f16 v14, v15, v5, v14
	v_mul_f16_sdwa v5, v18, v5 dst_sel:DWORD dst_unused:UNUSED_PAD src0_sel:WORD_1 src1_sel:DWORD
	v_fma_f16 v5, v18, v16, -v5
	buffer_load_dword v18, off, s[20:23], 0 offset:128 ; 4-byte Folded Reload
	v_cvt_f32_f16_e32 v14, v14
	v_cvt_f32_f16_e32 v5, v5
	v_cvt_f64_f32_e32 v[14:15], v14
	v_mul_f64 v[14:15], v[14:15], s[2:3]
	v_and_or_b32 v3, v15, s6, v14
	v_cmp_ne_u32_e32 vcc, 0, v3
	v_cndmask_b32_e64 v3, 0, 1, vcc
	v_lshrrev_b32_e32 v6, 8, v15
	v_bfe_u32 v8, v15, 20, 11
	v_and_or_b32 v3, v6, s7, v3
	v_sub_u32_e32 v10, 0x3f1, v8
	v_or_b32_e32 v6, 0x1000, v3
	v_med3_i32 v10, v10, 0, 13
	v_lshrrev_b32_e32 v14, v10, v6
	v_lshlrev_b32_e32 v10, v10, v14
	v_cmp_ne_u32_e32 vcc, v10, v6
	v_cndmask_b32_e64 v6, 0, 1, vcc
	v_add_u32_e32 v8, 0xfffffc10, v8
	v_or_b32_e32 v6, v14, v6
	v_lshl_or_b32 v10, v8, 12, v3
	v_cmp_gt_i32_e32 vcc, 1, v8
	v_cndmask_b32_e32 v6, v10, v6, vcc
	v_and_b32_e32 v10, 7, v6
	v_cmp_lt_i32_e32 vcc, 5, v10
	v_cmp_eq_u32_e64 s[0:1], 3, v10
	v_lshrrev_b32_e32 v10, 2, v6
	v_cvt_f64_f32_e32 v[5:6], v5
	s_or_b64 vcc, s[0:1], vcc
	v_addc_co_u32_e32 v10, vcc, 0, v10, vcc
	v_mul_f64 v[16:17], v[5:6], s[2:3]
	v_cmp_gt_i32_e32 vcc, 31, v8
	v_cndmask_b32_e32 v10, v11, v10, vcc
	v_cmp_ne_u32_e32 vcc, 0, v3
	v_cndmask_b32_e64 v3, 0, 1, vcc
	v_lshl_or_b32 v3, v3, 9, v11
	v_cmp_eq_u32_e32 vcc, s10, v8
	v_cndmask_b32_e32 v3, v10, v3, vcc
	v_lshrrev_b32_e32 v5, 16, v15
	v_and_or_b32 v3, v5, s11, v3
	v_and_or_b32 v5, v17, s6, v16
	v_cmp_ne_u32_e32 vcc, 0, v5
	v_cndmask_b32_e64 v5, 0, 1, vcc
	v_lshrrev_b32_e32 v6, 8, v17
	v_and_or_b32 v8, v6, s7, v5
	v_bfe_u32 v6, v17, 20, 11
	v_sub_u32_e32 v10, 0x3f1, v6
	v_or_b32_e32 v5, 0x1000, v8
	v_med3_i32 v10, v10, 0, 13
	v_lshrrev_b32_e32 v14, v10, v5
	v_lshlrev_b32_e32 v10, v10, v14
	v_cmp_ne_u32_e32 vcc, v10, v5
	v_cndmask_b32_e64 v5, 0, 1, vcc
	v_add_u32_e32 v10, 0xfffffc10, v6
	v_or_b32_e32 v5, v14, v5
	v_lshl_or_b32 v6, v10, 12, v8
	v_cmp_gt_i32_e32 vcc, 1, v10
	v_cndmask_b32_e32 v5, v6, v5, vcc
	v_and_b32_e32 v6, 7, v5
	v_cmp_lt_i32_e32 vcc, 5, v6
	v_cmp_eq_u32_e64 s[0:1], 3, v6
	v_lshrrev_b32_e32 v5, 2, v5
	s_or_b64 vcc, s[0:1], vcc
	v_addc_co_u32_e32 v14, vcc, 0, v5, vcc
	ds_read2_b32 v[5:6], v184 offset0:16 offset1:65
	v_cmp_gt_i32_e32 vcc, 31, v10
	v_cndmask_b32_e32 v14, v11, v14, vcc
	v_cmp_ne_u32_e32 vcc, 0, v8
	v_cndmask_b32_e64 v8, 0, 1, vcc
	s_waitcnt lgkmcnt(0)
	v_lshrrev_b32_e32 v16, 16, v5
	s_waitcnt vmcnt(0)
	v_mul_f16_sdwa v15, v18, v16 dst_sel:DWORD dst_unused:UNUSED_PAD src0_sel:WORD_1 src1_sel:DWORD
	v_fma_f16 v15, v18, v5, v15
	v_cvt_f32_f16_e32 v15, v15
	v_lshl_or_b32 v8, v8, 9, v11
	v_cmp_eq_u32_e32 vcc, s10, v10
	v_cndmask_b32_e32 v8, v14, v8, vcc
	v_cvt_f64_f32_e32 v[14:15], v15
	v_lshrrev_b32_e32 v10, 16, v17
	v_and_or_b32 v8, v10, s11, v8
	v_and_b32_e32 v3, 0xffff, v3
	v_mul_f64 v[14:15], v[14:15], s[2:3]
	v_lshl_or_b32 v3, v8, 16, v3
	v_mov_b32_e32 v8, s4
	v_add_co_u32_e32 v12, vcc, s5, v12
	v_addc_co_u32_e32 v13, vcc, v13, v8, vcc
	global_store_dword v[12:13], v3, off
	v_and_or_b32 v3, v15, s6, v14
	v_cmp_ne_u32_e32 vcc, 0, v3
	v_cndmask_b32_e64 v3, 0, 1, vcc
	v_lshrrev_b32_e32 v8, 8, v15
	v_bfe_u32 v10, v15, 20, 11
	v_and_or_b32 v3, v8, s7, v3
	v_sub_u32_e32 v14, 0x3f1, v10
	v_mul_f16_sdwa v5, v18, v5 dst_sel:DWORD dst_unused:UNUSED_PAD src0_sel:WORD_1 src1_sel:DWORD
	v_or_b32_e32 v8, 0x1000, v3
	v_med3_i32 v14, v14, 0, 13
	v_fma_f16 v5, v18, v16, -v5
	v_lshrrev_b32_e32 v17, v14, v8
	v_cvt_f32_f16_e32 v5, v5
	v_lshlrev_b32_e32 v14, v14, v17
	v_cmp_ne_u32_e32 vcc, v14, v8
	v_cndmask_b32_e64 v8, 0, 1, vcc
	v_or_b32_e32 v8, v17, v8
	v_add_u32_e32 v10, 0xfffffc10, v10
	v_cvt_f64_f32_e32 v[16:17], v5
	v_lshl_or_b32 v14, v10, 12, v3
	v_cmp_gt_i32_e32 vcc, 1, v10
	v_cndmask_b32_e32 v8, v14, v8, vcc
	v_and_b32_e32 v14, 7, v8
	v_cmp_lt_i32_e32 vcc, 5, v14
	v_cmp_eq_u32_e64 s[0:1], 3, v14
	v_mul_f64 v[16:17], v[16:17], s[2:3]
	v_lshrrev_b32_e32 v8, 2, v8
	s_or_b64 vcc, s[0:1], vcc
	v_addc_co_u32_e32 v5, vcc, 0, v8, vcc
	v_cmp_gt_i32_e32 vcc, 31, v10
	v_cndmask_b32_e32 v5, v11, v5, vcc
	v_cmp_ne_u32_e32 vcc, 0, v3
	v_cndmask_b32_e64 v3, 0, 1, vcc
	v_lshl_or_b32 v3, v3, 9, v11
	v_cmp_eq_u32_e32 vcc, s10, v10
	v_cndmask_b32_e32 v3, v5, v3, vcc
	v_lshrrev_b32_e32 v5, 16, v15
	v_and_or_b32 v3, v5, s11, v3
	v_and_or_b32 v5, v17, s6, v16
	v_cmp_ne_u32_e32 vcc, 0, v5
	v_cndmask_b32_e64 v5, 0, 1, vcc
	v_lshrrev_b32_e32 v8, 8, v17
	v_bfe_u32 v10, v17, 20, 11
	v_and_or_b32 v5, v8, s7, v5
	v_sub_u32_e32 v14, 0x3f1, v10
	v_or_b32_e32 v8, 0x1000, v5
	v_med3_i32 v14, v14, 0, 13
	v_lshrrev_b32_e32 v15, v14, v8
	v_lshlrev_b32_e32 v14, v14, v15
	v_cmp_ne_u32_e32 vcc, v14, v8
	v_cndmask_b32_e64 v8, 0, 1, vcc
	v_or_b32_e32 v8, v15, v8
	buffer_load_dword v15, off, s[20:23], 0 offset:124 ; 4-byte Folded Reload
	v_add_u32_e32 v10, 0xfffffc10, v10
	v_lshl_or_b32 v14, v10, 12, v5
	v_cmp_gt_i32_e32 vcc, 1, v10
	v_cndmask_b32_e32 v8, v14, v8, vcc
	v_and_b32_e32 v14, 7, v8
	v_lshrrev_b32_e32 v16, 16, v7
	v_cmp_lt_i32_e32 vcc, 5, v14
	v_cmp_eq_u32_e64 s[0:1], 3, v14
	v_lshrrev_b32_e32 v8, 2, v8
	s_or_b64 vcc, s[0:1], vcc
	v_addc_co_u32_e32 v8, vcc, 0, v8, vcc
	v_cmp_gt_i32_e32 vcc, 31, v10
	v_cndmask_b32_e32 v8, v11, v8, vcc
	v_cmp_ne_u32_e32 vcc, 0, v5
	v_cndmask_b32_e64 v5, 0, 1, vcc
	v_lshl_or_b32 v5, v5, 9, v11
	v_cmp_eq_u32_e32 vcc, s10, v10
	v_cndmask_b32_e32 v5, v8, v5, vcc
	v_lshrrev_b32_e32 v8, 16, v17
	v_and_or_b32 v5, v8, s11, v5
	v_and_b32_e32 v3, 0xffff, v3
	v_lshl_or_b32 v3, v5, 16, v3
	v_mov_b32_e32 v5, s4
	v_add_co_u32_e32 v12, vcc, s5, v12
	v_addc_co_u32_e32 v13, vcc, v13, v5, vcc
	global_store_dword v[12:13], v3, off
	s_waitcnt vmcnt(1)
	v_mul_f16_sdwa v14, v15, v16 dst_sel:DWORD dst_unused:UNUSED_PAD src0_sel:WORD_1 src1_sel:DWORD
	v_mov_b32_e32 v18, v15
	v_fma_f16 v14, v15, v7, v14
	v_mul_f16_sdwa v7, v18, v7 dst_sel:DWORD dst_unused:UNUSED_PAD src0_sel:WORD_1 src1_sel:DWORD
	v_fma_f16 v7, v18, v16, -v7
	buffer_load_dword v18, off, s[20:23], 0 offset:120 ; 4-byte Folded Reload
	v_cvt_f32_f16_e32 v14, v14
	v_cvt_f32_f16_e32 v7, v7
	v_cvt_f64_f32_e32 v[14:15], v14
	v_mul_f64 v[14:15], v[14:15], s[2:3]
	v_and_or_b32 v3, v15, s6, v14
	v_cmp_ne_u32_e32 vcc, 0, v3
	v_cndmask_b32_e64 v3, 0, 1, vcc
	v_lshrrev_b32_e32 v5, 8, v15
	v_bfe_u32 v8, v15, 20, 11
	v_and_or_b32 v3, v5, s7, v3
	v_sub_u32_e32 v10, 0x3f1, v8
	v_or_b32_e32 v5, 0x1000, v3
	v_med3_i32 v10, v10, 0, 13
	v_lshrrev_b32_e32 v14, v10, v5
	v_lshlrev_b32_e32 v10, v10, v14
	v_cmp_ne_u32_e32 vcc, v10, v5
	v_cndmask_b32_e64 v5, 0, 1, vcc
	v_add_u32_e32 v10, 0xfffffc10, v8
	v_or_b32_e32 v5, v14, v5
	v_lshl_or_b32 v8, v10, 12, v3
	v_cmp_gt_i32_e32 vcc, 1, v10
	v_cndmask_b32_e32 v5, v8, v5, vcc
	v_and_b32_e32 v8, 7, v5
	v_cmp_lt_i32_e32 vcc, 5, v8
	v_cmp_eq_u32_e64 s[0:1], 3, v8
	v_cvt_f64_f32_e32 v[7:8], v7
	v_lshrrev_b32_e32 v5, 2, v5
	s_or_b64 vcc, s[0:1], vcc
	v_addc_co_u32_e32 v5, vcc, 0, v5, vcc
	v_mul_f64 v[16:17], v[7:8], s[2:3]
	v_cmp_gt_i32_e32 vcc, 31, v10
	v_cndmask_b32_e32 v5, v11, v5, vcc
	v_cmp_ne_u32_e32 vcc, 0, v3
	v_cndmask_b32_e64 v3, 0, 1, vcc
	v_lshl_or_b32 v3, v3, 9, v11
	v_cmp_eq_u32_e32 vcc, s10, v10
	v_cndmask_b32_e32 v3, v5, v3, vcc
	v_lshrrev_b32_e32 v5, 16, v15
	v_and_or_b32 v3, v5, s11, v3
	v_and_or_b32 v5, v17, s6, v16
	v_cmp_ne_u32_e32 vcc, 0, v5
	v_cndmask_b32_e64 v5, 0, 1, vcc
	v_lshrrev_b32_e32 v7, 8, v17
	v_bfe_u32 v8, v17, 20, 11
	v_and_or_b32 v5, v7, s7, v5
	v_sub_u32_e32 v10, 0x3f1, v8
	v_or_b32_e32 v7, 0x1000, v5
	v_med3_i32 v10, v10, 0, 13
	v_lshrrev_b32_e32 v14, v10, v7
	v_lshlrev_b32_e32 v10, v10, v14
	v_cmp_ne_u32_e32 vcc, v10, v7
	v_cndmask_b32_e64 v7, 0, 1, vcc
	v_add_u32_e32 v10, 0xfffffc10, v8
	v_or_b32_e32 v7, v14, v7
	v_lshl_or_b32 v8, v10, 12, v5
	v_cmp_gt_i32_e32 vcc, 1, v10
	v_cndmask_b32_e32 v7, v8, v7, vcc
	v_and_b32_e32 v8, 7, v7
	v_cmp_lt_i32_e32 vcc, 5, v8
	v_cmp_eq_u32_e64 s[0:1], 3, v8
	v_lshrrev_b32_e32 v7, 2, v7
	s_or_b64 vcc, s[0:1], vcc
	v_addc_co_u32_e32 v14, vcc, 0, v7, vcc
	ds_read2_b32 v[7:8], v188 offset0:190 offset1:239
	v_cmp_gt_i32_e32 vcc, 31, v10
	v_cndmask_b32_e32 v14, v11, v14, vcc
	v_cmp_ne_u32_e32 vcc, 0, v5
	v_cndmask_b32_e64 v5, 0, 1, vcc
	s_waitcnt lgkmcnt(0)
	v_lshrrev_b32_e32 v16, 16, v7
	s_waitcnt vmcnt(0)
	v_mul_f16_sdwa v15, v18, v16 dst_sel:DWORD dst_unused:UNUSED_PAD src0_sel:WORD_1 src1_sel:DWORD
	v_fma_f16 v15, v18, v7, v15
	v_cvt_f32_f16_e32 v15, v15
	v_lshl_or_b32 v5, v5, 9, v11
	v_cmp_eq_u32_e32 vcc, s10, v10
	v_cndmask_b32_e32 v5, v14, v5, vcc
	v_cvt_f64_f32_e32 v[14:15], v15
	v_lshrrev_b32_e32 v10, 16, v17
	v_and_or_b32 v5, v10, s11, v5
	v_and_b32_e32 v3, 0xffff, v3
	v_mul_f64 v[14:15], v[14:15], s[2:3]
	v_lshl_or_b32 v3, v5, 16, v3
	v_mov_b32_e32 v5, s4
	v_add_co_u32_e32 v12, vcc, s5, v12
	v_addc_co_u32_e32 v13, vcc, v13, v5, vcc
	global_store_dword v[12:13], v3, off
	v_and_or_b32 v3, v15, s6, v14
	v_cmp_ne_u32_e32 vcc, 0, v3
	v_cndmask_b32_e64 v3, 0, 1, vcc
	v_lshrrev_b32_e32 v5, 8, v15
	v_bfe_u32 v10, v15, 20, 11
	v_and_or_b32 v3, v5, s7, v3
	v_sub_u32_e32 v14, 0x3f1, v10
	v_mul_f16_sdwa v7, v18, v7 dst_sel:DWORD dst_unused:UNUSED_PAD src0_sel:WORD_1 src1_sel:DWORD
	v_or_b32_e32 v5, 0x1000, v3
	v_med3_i32 v14, v14, 0, 13
	v_fma_f16 v7, v18, v16, -v7
	v_lshrrev_b32_e32 v17, v14, v5
	v_cvt_f32_f16_e32 v7, v7
	v_lshlrev_b32_e32 v14, v14, v17
	v_cmp_ne_u32_e32 vcc, v14, v5
	v_cndmask_b32_e64 v5, 0, 1, vcc
	v_or_b32_e32 v5, v17, v5
	v_add_u32_e32 v10, 0xfffffc10, v10
	v_cvt_f64_f32_e32 v[16:17], v7
	v_lshl_or_b32 v14, v10, 12, v3
	v_cmp_gt_i32_e32 vcc, 1, v10
	v_cndmask_b32_e32 v5, v14, v5, vcc
	v_and_b32_e32 v14, 7, v5
	v_cmp_lt_i32_e32 vcc, 5, v14
	v_cmp_eq_u32_e64 s[0:1], 3, v14
	v_mul_f64 v[16:17], v[16:17], s[2:3]
	v_lshrrev_b32_e32 v5, 2, v5
	s_or_b64 vcc, s[0:1], vcc
	v_addc_co_u32_e32 v5, vcc, 0, v5, vcc
	v_cmp_gt_i32_e32 vcc, 31, v10
	v_cndmask_b32_e32 v5, v11, v5, vcc
	v_cmp_ne_u32_e32 vcc, 0, v3
	v_cndmask_b32_e64 v3, 0, 1, vcc
	v_lshl_or_b32 v3, v3, 9, v11
	v_cmp_eq_u32_e32 vcc, s10, v10
	v_cndmask_b32_e32 v3, v5, v3, vcc
	v_lshrrev_b32_e32 v5, 16, v15
	v_and_or_b32 v3, v5, s11, v3
	v_and_or_b32 v5, v17, s6, v16
	v_cmp_ne_u32_e32 vcc, 0, v5
	v_cndmask_b32_e64 v5, 0, 1, vcc
	v_lshrrev_b32_e32 v7, 8, v17
	v_bfe_u32 v10, v17, 20, 11
	v_and_or_b32 v5, v7, s7, v5
	v_sub_u32_e32 v14, 0x3f1, v10
	v_or_b32_e32 v7, 0x1000, v5
	v_med3_i32 v14, v14, 0, 13
	v_lshrrev_b32_e32 v15, v14, v7
	v_lshlrev_b32_e32 v14, v14, v15
	v_cmp_ne_u32_e32 vcc, v14, v7
	v_cndmask_b32_e64 v7, 0, 1, vcc
	v_or_b32_e32 v7, v15, v7
	buffer_load_dword v15, off, s[20:23], 0 offset:116 ; 4-byte Folded Reload
	v_add_u32_e32 v10, 0xfffffc10, v10
	v_lshl_or_b32 v14, v10, 12, v5
	v_cmp_gt_i32_e32 vcc, 1, v10
	v_cndmask_b32_e32 v7, v14, v7, vcc
	v_and_b32_e32 v14, 7, v7
	v_lshrrev_b32_e32 v16, 16, v9
	v_cmp_lt_i32_e32 vcc, 5, v14
	v_cmp_eq_u32_e64 s[0:1], 3, v14
	v_lshrrev_b32_e32 v7, 2, v7
	s_or_b64 vcc, s[0:1], vcc
	v_addc_co_u32_e32 v7, vcc, 0, v7, vcc
	v_cmp_gt_i32_e32 vcc, 31, v10
	v_cndmask_b32_e32 v7, v11, v7, vcc
	v_cmp_ne_u32_e32 vcc, 0, v5
	v_cndmask_b32_e64 v5, 0, 1, vcc
	v_lshl_or_b32 v5, v5, 9, v11
	v_cmp_eq_u32_e32 vcc, s10, v10
	v_cndmask_b32_e32 v5, v7, v5, vcc
	v_lshrrev_b32_e32 v7, 16, v17
	v_and_or_b32 v5, v7, s11, v5
	v_and_b32_e32 v3, 0xffff, v3
	v_lshl_or_b32 v3, v5, 16, v3
	v_mov_b32_e32 v5, s4
	v_add_co_u32_e32 v12, vcc, s5, v12
	v_addc_co_u32_e32 v13, vcc, v13, v5, vcc
	global_store_dword v[12:13], v3, off
	s_waitcnt vmcnt(1)
	v_mul_f16_sdwa v14, v15, v16 dst_sel:DWORD dst_unused:UNUSED_PAD src0_sel:WORD_1 src1_sel:DWORD
	v_mov_b32_e32 v18, v15
	v_fma_f16 v14, v15, v9, v14
	v_mul_f16_sdwa v9, v18, v9 dst_sel:DWORD dst_unused:UNUSED_PAD src0_sel:WORD_1 src1_sel:DWORD
	v_fma_f16 v9, v18, v16, -v9
	buffer_load_dword v18, off, s[20:23], 0 offset:112 ; 4-byte Folded Reload
	v_cvt_f32_f16_e32 v14, v14
	v_cvt_f32_f16_e32 v9, v9
	v_cvt_f64_f32_e32 v[14:15], v14
	v_mul_f64 v[14:15], v[14:15], s[2:3]
	v_and_or_b32 v3, v15, s6, v14
	v_cmp_ne_u32_e32 vcc, 0, v3
	v_cndmask_b32_e64 v3, 0, 1, vcc
	v_lshrrev_b32_e32 v5, 8, v15
	v_bfe_u32 v7, v15, 20, 11
	v_and_or_b32 v3, v5, s7, v3
	v_sub_u32_e32 v10, 0x3f1, v7
	v_or_b32_e32 v5, 0x1000, v3
	v_med3_i32 v10, v10, 0, 13
	v_lshrrev_b32_e32 v14, v10, v5
	v_lshlrev_b32_e32 v10, v10, v14
	v_cmp_ne_u32_e32 vcc, v10, v5
	v_cndmask_b32_e64 v5, 0, 1, vcc
	v_add_u32_e32 v7, 0xfffffc10, v7
	v_or_b32_e32 v5, v14, v5
	v_lshl_or_b32 v10, v7, 12, v3
	v_cmp_gt_i32_e32 vcc, 1, v7
	v_cndmask_b32_e32 v5, v10, v5, vcc
	v_and_b32_e32 v10, 7, v5
	v_cmp_lt_i32_e32 vcc, 5, v10
	v_cmp_eq_u32_e64 s[0:1], 3, v10
	v_cvt_f64_f32_e32 v[9:10], v9
	v_lshrrev_b32_e32 v5, 2, v5
	s_or_b64 vcc, s[0:1], vcc
	v_addc_co_u32_e32 v5, vcc, 0, v5, vcc
	v_mul_f64 v[16:17], v[9:10], s[2:3]
	v_cmp_gt_i32_e32 vcc, 31, v7
	v_cndmask_b32_e32 v5, v11, v5, vcc
	v_cmp_ne_u32_e32 vcc, 0, v3
	v_cndmask_b32_e64 v3, 0, 1, vcc
	v_lshl_or_b32 v3, v3, 9, v11
	v_cmp_eq_u32_e32 vcc, s10, v7
	v_cndmask_b32_e32 v3, v5, v3, vcc
	v_lshrrev_b32_e32 v5, 16, v15
	v_and_or_b32 v3, v5, s11, v3
	v_and_or_b32 v5, v17, s6, v16
	v_cmp_ne_u32_e32 vcc, 0, v5
	v_cndmask_b32_e64 v5, 0, 1, vcc
	v_lshrrev_b32_e32 v7, 8, v17
	v_bfe_u32 v9, v17, 20, 11
	v_and_or_b32 v5, v7, s7, v5
	v_sub_u32_e32 v10, 0x3f1, v9
	v_or_b32_e32 v7, 0x1000, v5
	v_med3_i32 v10, v10, 0, 13
	v_lshrrev_b32_e32 v14, v10, v7
	v_lshlrev_b32_e32 v10, v10, v14
	v_cmp_ne_u32_e32 vcc, v10, v7
	v_cndmask_b32_e64 v7, 0, 1, vcc
	v_or_b32_e32 v7, v14, v7
	v_add_u32_e32 v14, 0xfffffc10, v9
	v_lshl_or_b32 v9, v14, 12, v5
	v_cmp_gt_i32_e32 vcc, 1, v14
	v_cndmask_b32_e32 v7, v9, v7, vcc
	v_and_b32_e32 v9, 7, v7
	v_cmp_lt_i32_e32 vcc, 5, v9
	v_cmp_eq_u32_e64 s[0:1], 3, v9
	ds_read2_b32 v[9:10], v183 offset0:108 offset1:157
	v_lshrrev_b32_e32 v7, 2, v7
	s_or_b64 vcc, s[0:1], vcc
	v_addc_co_u32_e32 v7, vcc, 0, v7, vcc
	s_waitcnt lgkmcnt(0)
	v_lshrrev_b32_e32 v16, 16, v9
	s_waitcnt vmcnt(0)
	v_mul_f16_sdwa v15, v18, v16 dst_sel:DWORD dst_unused:UNUSED_PAD src0_sel:WORD_1 src1_sel:DWORD
	v_fma_f16 v15, v18, v9, v15
	v_cvt_f32_f16_e32 v15, v15
	v_cmp_gt_i32_e32 vcc, 31, v14
	v_cndmask_b32_e32 v7, v11, v7, vcc
	v_cmp_ne_u32_e32 vcc, 0, v5
	v_cndmask_b32_e64 v5, 0, 1, vcc
	v_cmp_eq_u32_e32 vcc, s10, v14
	v_cvt_f64_f32_e32 v[14:15], v15
	v_lshl_or_b32 v5, v5, 9, v11
	v_cndmask_b32_e32 v5, v7, v5, vcc
	v_lshrrev_b32_e32 v7, 16, v17
	v_mul_f64 v[14:15], v[14:15], s[2:3]
	v_and_or_b32 v5, v7, s11, v5
	v_and_b32_e32 v3, 0xffff, v3
	v_lshl_or_b32 v3, v5, 16, v3
	v_mov_b32_e32 v5, s4
	v_add_co_u32_e32 v12, vcc, s5, v12
	v_addc_co_u32_e32 v13, vcc, v13, v5, vcc
	global_store_dword v[12:13], v3, off
	v_and_or_b32 v3, v15, s6, v14
	v_cmp_ne_u32_e32 vcc, 0, v3
	v_cndmask_b32_e64 v3, 0, 1, vcc
	v_lshrrev_b32_e32 v5, 8, v15
	v_bfe_u32 v7, v15, 20, 11
	v_and_or_b32 v3, v5, s7, v3
	v_sub_u32_e32 v14, 0x3f1, v7
	v_mul_f16_sdwa v9, v18, v9 dst_sel:DWORD dst_unused:UNUSED_PAD src0_sel:WORD_1 src1_sel:DWORD
	v_or_b32_e32 v5, 0x1000, v3
	v_med3_i32 v14, v14, 0, 13
	v_fma_f16 v9, v18, v16, -v9
	v_lshrrev_b32_e32 v17, v14, v5
	v_cvt_f32_f16_e32 v9, v9
	v_lshlrev_b32_e32 v14, v14, v17
	v_cmp_ne_u32_e32 vcc, v14, v5
	v_cndmask_b32_e64 v5, 0, 1, vcc
	v_or_b32_e32 v5, v17, v5
	v_add_u32_e32 v7, 0xfffffc10, v7
	v_cvt_f64_f32_e32 v[16:17], v9
	v_lshl_or_b32 v14, v7, 12, v3
	v_cmp_gt_i32_e32 vcc, 1, v7
	v_cndmask_b32_e32 v5, v14, v5, vcc
	v_and_b32_e32 v14, 7, v5
	v_cmp_lt_i32_e32 vcc, 5, v14
	v_cmp_eq_u32_e64 s[0:1], 3, v14
	v_mul_f64 v[16:17], v[16:17], s[2:3]
	v_lshrrev_b32_e32 v5, 2, v5
	s_or_b64 vcc, s[0:1], vcc
	v_addc_co_u32_e32 v5, vcc, 0, v5, vcc
	v_cmp_gt_i32_e32 vcc, 31, v7
	v_cndmask_b32_e32 v5, v11, v5, vcc
	v_cmp_ne_u32_e32 vcc, 0, v3
	v_cndmask_b32_e64 v3, 0, 1, vcc
	v_lshl_or_b32 v3, v3, 9, v11
	v_cmp_eq_u32_e32 vcc, s10, v7
	v_cndmask_b32_e32 v3, v5, v3, vcc
	v_lshrrev_b32_e32 v5, 16, v15
	v_and_or_b32 v3, v5, s11, v3
	v_and_or_b32 v5, v17, s6, v16
	v_cmp_ne_u32_e32 vcc, 0, v5
	v_cndmask_b32_e64 v5, 0, 1, vcc
	v_lshrrev_b32_e32 v7, 8, v17
	v_bfe_u32 v9, v17, 20, 11
	v_and_or_b32 v5, v7, s7, v5
	v_sub_u32_e32 v14, 0x3f1, v9
	v_or_b32_e32 v7, 0x1000, v5
	v_med3_i32 v14, v14, 0, 13
	v_lshrrev_b32_e32 v15, v14, v7
	v_lshlrev_b32_e32 v14, v14, v15
	v_cmp_ne_u32_e32 vcc, v14, v7
	v_cndmask_b32_e64 v7, 0, 1, vcc
	v_or_b32_e32 v7, v15, v7
	buffer_load_dword v15, off, s[20:23], 0 offset:108 ; 4-byte Folded Reload
	v_add_u32_e32 v9, 0xfffffc10, v9
	v_lshl_or_b32 v14, v9, 12, v5
	v_cmp_gt_i32_e32 vcc, 1, v9
	v_cndmask_b32_e32 v7, v14, v7, vcc
	v_and_b32_e32 v14, 7, v7
	v_lshrrev_b32_e32 v16, 16, v4
	v_cmp_lt_i32_e32 vcc, 5, v14
	v_cmp_eq_u32_e64 s[0:1], 3, v14
	v_lshrrev_b32_e32 v7, 2, v7
	s_or_b64 vcc, s[0:1], vcc
	v_addc_co_u32_e32 v7, vcc, 0, v7, vcc
	v_cmp_gt_i32_e32 vcc, 31, v9
	v_cndmask_b32_e32 v7, v11, v7, vcc
	v_cmp_ne_u32_e32 vcc, 0, v5
	v_cndmask_b32_e64 v5, 0, 1, vcc
	v_lshl_or_b32 v5, v5, 9, v11
	v_cmp_eq_u32_e32 vcc, s10, v9
	v_cndmask_b32_e32 v5, v7, v5, vcc
	v_lshrrev_b32_e32 v7, 16, v17
	v_and_or_b32 v5, v7, s11, v5
	v_and_b32_e32 v3, 0xffff, v3
	v_lshl_or_b32 v3, v5, 16, v3
	v_mov_b32_e32 v5, s4
	v_add_co_u32_e32 v12, vcc, s5, v12
	v_addc_co_u32_e32 v13, vcc, v13, v5, vcc
	global_store_dword v[12:13], v3, off
	s_waitcnt vmcnt(1)
	v_mul_f16_sdwa v14, v15, v16 dst_sel:DWORD dst_unused:UNUSED_PAD src0_sel:WORD_1 src1_sel:DWORD
	v_mov_b32_e32 v18, v15
	v_fma_f16 v14, v15, v4, v14
	v_mul_f16_sdwa v4, v18, v4 dst_sel:DWORD dst_unused:UNUSED_PAD src0_sel:WORD_1 src1_sel:DWORD
	v_fma_f16 v4, v18, v16, -v4
	buffer_load_dword v18, off, s[20:23], 0 offset:104 ; 4-byte Folded Reload
	v_cvt_f32_f16_e32 v14, v14
	v_cvt_f32_f16_e32 v4, v4
	v_cvt_f64_f32_e32 v[14:15], v14
	v_mul_f64 v[14:15], v[14:15], s[2:3]
	v_and_or_b32 v3, v15, s6, v14
	v_cmp_ne_u32_e32 vcc, 0, v3
	v_cndmask_b32_e64 v3, 0, 1, vcc
	v_lshrrev_b32_e32 v5, 8, v15
	v_bfe_u32 v7, v15, 20, 11
	v_and_or_b32 v5, v5, s7, v3
	v_sub_u32_e32 v9, 0x3f1, v7
	v_or_b32_e32 v3, 0x1000, v5
	v_med3_i32 v9, v9, 0, 13
	v_lshrrev_b32_e32 v14, v9, v3
	v_lshlrev_b32_e32 v9, v9, v14
	v_cmp_ne_u32_e32 vcc, v9, v3
	v_cndmask_b32_e64 v3, 0, 1, vcc
	v_add_u32_e32 v7, 0xfffffc10, v7
	v_or_b32_e32 v3, v14, v3
	v_lshl_or_b32 v9, v7, 12, v5
	v_cmp_gt_i32_e32 vcc, 1, v7
	v_cndmask_b32_e32 v3, v9, v3, vcc
	v_and_b32_e32 v9, 7, v3
	v_cmp_lt_i32_e32 vcc, 5, v9
	v_cmp_eq_u32_e64 s[0:1], 3, v9
	v_lshrrev_b32_e32 v9, 2, v3
	v_cvt_f64_f32_e32 v[3:4], v4
	s_or_b64 vcc, s[0:1], vcc
	v_addc_co_u32_e32 v9, vcc, 0, v9, vcc
	v_mul_f64 v[16:17], v[3:4], s[2:3]
	v_cmp_gt_i32_e32 vcc, 31, v7
	v_cndmask_b32_e32 v9, v11, v9, vcc
	v_cmp_ne_u32_e32 vcc, 0, v5
	v_cndmask_b32_e64 v3, 0, 1, vcc
	v_lshl_or_b32 v3, v3, 9, v11
	v_cmp_eq_u32_e32 vcc, s10, v7
	v_cndmask_b32_e32 v3, v9, v3, vcc
	v_lshrrev_b32_e32 v4, 16, v15
	v_and_or_b32 v3, v4, s11, v3
	v_and_or_b32 v4, v17, s6, v16
	v_cmp_ne_u32_e32 vcc, 0, v4
	v_cndmask_b32_e64 v4, 0, 1, vcc
	v_lshrrev_b32_e32 v5, 8, v17
	v_and_or_b32 v7, v5, s7, v4
	v_bfe_u32 v5, v17, 20, 11
	v_sub_u32_e32 v9, 0x3f1, v5
	v_or_b32_e32 v4, 0x1000, v7
	v_med3_i32 v9, v9, 0, 13
	v_lshrrev_b32_e32 v14, v9, v4
	v_lshlrev_b32_e32 v9, v9, v14
	v_cmp_ne_u32_e32 vcc, v9, v4
	v_cndmask_b32_e64 v4, 0, 1, vcc
	v_add_u32_e32 v9, 0xfffffc10, v5
	v_or_b32_e32 v4, v14, v4
	v_lshl_or_b32 v5, v9, 12, v7
	v_cmp_gt_i32_e32 vcc, 1, v9
	v_cndmask_b32_e32 v4, v5, v4, vcc
	v_and_b32_e32 v5, 7, v4
	v_cmp_lt_i32_e32 vcc, 5, v5
	v_cmp_eq_u32_e64 s[0:1], 3, v5
	v_lshrrev_b32_e32 v4, 2, v4
	s_or_b64 vcc, s[0:1], vcc
	v_addc_co_u32_e32 v14, vcc, 0, v4, vcc
	ds_read2_b32 v[4:5], v213 offset0:106 offset1:155
	v_cmp_gt_i32_e32 vcc, 31, v9
	v_cndmask_b32_e32 v14, v11, v14, vcc
	v_cmp_ne_u32_e32 vcc, 0, v7
	v_cndmask_b32_e64 v7, 0, 1, vcc
	s_waitcnt lgkmcnt(0)
	v_lshrrev_b32_e32 v16, 16, v4
	s_waitcnt vmcnt(0)
	v_mul_f16_sdwa v15, v18, v16 dst_sel:DWORD dst_unused:UNUSED_PAD src0_sel:WORD_1 src1_sel:DWORD
	v_fma_f16 v15, v18, v4, v15
	v_cvt_f32_f16_e32 v15, v15
	v_lshl_or_b32 v7, v7, 9, v11
	v_cmp_eq_u32_e32 vcc, s10, v9
	v_cndmask_b32_e32 v7, v14, v7, vcc
	v_cvt_f64_f32_e32 v[14:15], v15
	v_lshrrev_b32_e32 v9, 16, v17
	v_and_or_b32 v7, v9, s11, v7
	v_and_b32_e32 v3, 0xffff, v3
	v_mul_f64 v[14:15], v[14:15], s[2:3]
	v_lshl_or_b32 v3, v7, 16, v3
	v_mov_b32_e32 v7, s9
	v_add_co_u32_e32 v12, vcc, s8, v12
	v_addc_co_u32_e32 v13, vcc, v13, v7, vcc
	global_store_dword v[12:13], v3, off
	v_and_or_b32 v3, v15, s6, v14
	v_cmp_ne_u32_e32 vcc, 0, v3
	v_cndmask_b32_e64 v3, 0, 1, vcc
	v_lshrrev_b32_e32 v7, 8, v15
	v_bfe_u32 v9, v15, 20, 11
	v_and_or_b32 v7, v7, s7, v3
	v_sub_u32_e32 v14, 0x3f1, v9
	v_or_b32_e32 v3, 0x1000, v7
	v_med3_i32 v14, v14, 0, 13
	v_lshrrev_b32_e32 v17, v14, v3
	v_lshlrev_b32_e32 v14, v14, v17
	v_cmp_ne_u32_e32 vcc, v14, v3
	v_cndmask_b32_e64 v3, 0, 1, vcc
	v_or_b32_e32 v3, v17, v3
	buffer_load_dword v17, off, s[20:23], 0 offset:100 ; 4-byte Folded Reload
	v_mul_f16_sdwa v4, v18, v4 dst_sel:DWORD dst_unused:UNUSED_PAD src0_sel:WORD_1 src1_sel:DWORD
	v_fma_f16 v4, v18, v16, -v4
	v_add_u32_e32 v9, 0xfffffc10, v9
	v_cvt_f32_f16_e32 v4, v4
	v_lshl_or_b32 v14, v9, 12, v7
	v_cmp_gt_i32_e32 vcc, 1, v9
	v_cndmask_b32_e32 v3, v14, v3, vcc
	v_and_b32_e32 v14, 7, v3
	v_cmp_lt_i32_e32 vcc, 5, v14
	v_cmp_eq_u32_e64 s[0:1], 3, v14
	v_lshrrev_b32_e32 v14, 2, v3
	v_cvt_f64_f32_e32 v[3:4], v4
	buffer_load_dword v18, off, s[20:23], 0 offset:96 ; 4-byte Folded Reload
	s_or_b64 vcc, s[0:1], vcc
	v_addc_co_u32_e32 v14, vcc, 0, v14, vcc
	v_mul_f64 v[3:4], v[3:4], s[2:3]
	v_cmp_gt_i32_e32 vcc, 31, v9
	v_cndmask_b32_e32 v14, v11, v14, vcc
	v_cmp_ne_u32_e32 vcc, 0, v7
	v_cndmask_b32_e64 v7, 0, 1, vcc
	v_lshl_or_b32 v7, v7, 9, v11
	v_cmp_eq_u32_e32 vcc, s10, v9
	v_cndmask_b32_e32 v7, v14, v7, vcc
	v_and_or_b32 v3, v4, s6, v3
	v_lshrrev_b32_e32 v9, 16, v15
	v_cmp_ne_u32_e32 vcc, 0, v3
	v_and_or_b32 v7, v9, s11, v7
	v_cndmask_b32_e64 v3, 0, 1, vcc
	v_lshrrev_b32_e32 v9, 8, v4
	v_bfe_u32 v14, v4, 20, 11
	v_and_or_b32 v3, v9, s7, v3
	v_sub_u32_e32 v15, 0x3f1, v14
	v_or_b32_e32 v9, 0x1000, v3
	v_med3_i32 v15, v15, 0, 13
	v_lshrrev_b32_e32 v16, v15, v9
	v_lshlrev_b32_e32 v15, v15, v16
	v_cmp_ne_u32_e32 vcc, v15, v9
	v_cndmask_b32_e64 v9, 0, 1, vcc
	v_add_u32_e32 v14, 0xfffffc10, v14
	v_or_b32_e32 v9, v16, v9
	v_lshl_or_b32 v15, v14, 12, v3
	v_cmp_gt_i32_e32 vcc, 1, v14
	v_cndmask_b32_e32 v9, v15, v9, vcc
	v_and_b32_e32 v15, 7, v9
	v_lshrrev_b32_e32 v16, 16, v6
	v_cmp_lt_i32_e32 vcc, 5, v15
	v_cmp_eq_u32_e64 s[0:1], 3, v15
	v_lshrrev_b32_e32 v9, 2, v9
	s_or_b64 vcc, s[0:1], vcc
	v_addc_co_u32_e32 v9, vcc, 0, v9, vcc
	v_cmp_gt_i32_e32 vcc, 31, v14
	v_cndmask_b32_e32 v9, v11, v9, vcc
	v_cmp_ne_u32_e32 vcc, 0, v3
	v_cndmask_b32_e64 v3, 0, 1, vcc
	v_cmp_eq_u32_e32 vcc, s10, v14
	v_lshl_or_b32 v3, v3, 9, v11
	v_cndmask_b32_e32 v3, v9, v3, vcc
	v_lshrrev_b32_e32 v4, 16, v4
	v_and_or_b32 v9, v4, s11, v3
	v_and_b32_e32 v7, 0xffff, v7
	v_lshl_or_b32 v7, v9, 16, v7
	v_mov_b32_e32 v9, s4
	v_add_co_u32_e32 v12, vcc, s5, v12
	v_addc_co_u32_e32 v13, vcc, v13, v9, vcc
	global_store_dword v[12:13], v7, off
	s_waitcnt vmcnt(2)
	v_mul_f16_sdwa v15, v17, v16 dst_sel:DWORD dst_unused:UNUSED_PAD src0_sel:WORD_1 src1_sel:DWORD
	v_fma_f16 v15, v17, v6, v15
	v_cvt_f32_f16_e32 v15, v15
	v_mul_f16_sdwa v6, v17, v6 dst_sel:DWORD dst_unused:UNUSED_PAD src0_sel:WORD_1 src1_sel:DWORD
	v_fma_f16 v6, v17, v16, -v6
	v_cvt_f32_f16_e32 v6, v6
	v_cvt_f64_f32_e32 v[14:15], v15
	v_mul_f64 v[3:4], v[14:15], s[2:3]
	v_and_or_b32 v3, v4, s6, v3
	v_cmp_ne_u32_e32 vcc, 0, v3
	v_cndmask_b32_e64 v3, 0, 1, vcc
	v_lshrrev_b32_e32 v7, 8, v4
	v_bfe_u32 v9, v4, 20, 11
	v_and_or_b32 v3, v7, s7, v3
	v_sub_u32_e32 v14, 0x3f1, v9
	v_or_b32_e32 v7, 0x1000, v3
	v_med3_i32 v14, v14, 0, 13
	v_lshrrev_b32_e32 v15, v14, v7
	v_lshlrev_b32_e32 v14, v14, v15
	v_cmp_ne_u32_e32 vcc, v14, v7
	v_cndmask_b32_e64 v7, 0, 1, vcc
	v_add_u32_e32 v9, 0xfffffc10, v9
	v_or_b32_e32 v7, v15, v7
	v_lshl_or_b32 v14, v9, 12, v3
	v_cmp_gt_i32_e32 vcc, 1, v9
	v_cndmask_b32_e32 v7, v14, v7, vcc
	v_and_b32_e32 v14, 7, v7
	v_cmp_lt_i32_e32 vcc, 5, v14
	v_cmp_eq_u32_e64 s[0:1], 3, v14
	v_lshrrev_b32_e32 v14, 2, v7
	v_cvt_f64_f32_e32 v[6:7], v6
	s_or_b64 vcc, s[0:1], vcc
	v_addc_co_u32_e32 v14, vcc, 0, v14, vcc
	v_cmp_gt_i32_e32 vcc, 31, v9
	v_cndmask_b32_e32 v16, v11, v14, vcc
	v_mul_f64 v[14:15], v[6:7], s[2:3]
	v_cmp_ne_u32_e32 vcc, 0, v3
	v_cndmask_b32_e64 v3, 0, 1, vcc
	v_lshl_or_b32 v3, v3, 9, v11
	v_cmp_eq_u32_e32 vcc, s10, v9
	v_cndmask_b32_e32 v3, v16, v3, vcc
	v_lshrrev_b32_e32 v4, 16, v4
	v_and_or_b32 v9, v4, s11, v3
	v_and_or_b32 v3, v15, s6, v14
	v_cmp_ne_u32_e32 vcc, 0, v3
	v_cndmask_b32_e64 v3, 0, 1, vcc
	v_lshrrev_b32_e32 v4, 8, v15
	v_bfe_u32 v6, v15, 20, 11
	v_and_or_b32 v3, v4, s7, v3
	v_sub_u32_e32 v7, 0x3f1, v6
	v_or_b32_e32 v4, 0x1000, v3
	v_med3_i32 v7, v7, 0, 13
	v_lshrrev_b32_e32 v14, v7, v4
	v_lshlrev_b32_e32 v7, v7, v14
	v_cmp_ne_u32_e32 vcc, v7, v4
	v_cndmask_b32_e64 v4, 0, 1, vcc
	v_or_b32_e32 v4, v14, v4
	v_add_u32_e32 v14, 0xfffffc10, v6
	v_lshl_or_b32 v6, v14, 12, v3
	v_cmp_gt_i32_e32 vcc, 1, v14
	v_cndmask_b32_e32 v4, v6, v4, vcc
	v_and_b32_e32 v6, 7, v4
	v_cmp_lt_i32_e32 vcc, 5, v6
	v_cmp_eq_u32_e64 s[0:1], 3, v6
	ds_read2_b32 v[6:7], v187 offset0:152 offset1:201
	v_lshrrev_b32_e32 v4, 2, v4
	s_or_b64 vcc, s[0:1], vcc
	v_addc_co_u32_e32 v4, vcc, 0, v4, vcc
	s_waitcnt lgkmcnt(0)
	v_lshrrev_b32_e32 v16, 16, v6
	s_waitcnt vmcnt(1)
	v_mul_f16_sdwa v17, v18, v16 dst_sel:DWORD dst_unused:UNUSED_PAD src0_sel:WORD_1 src1_sel:DWORD
	v_fma_f16 v17, v18, v6, v17
	v_cmp_gt_i32_e32 vcc, 31, v14
	v_cvt_f32_f16_e32 v17, v17
	v_cndmask_b32_e32 v4, v11, v4, vcc
	v_cmp_ne_u32_e32 vcc, 0, v3
	v_cndmask_b32_e64 v3, 0, 1, vcc
	v_lshl_or_b32 v3, v3, 9, v11
	v_cmp_eq_u32_e32 vcc, s10, v14
	v_cndmask_b32_e32 v14, v4, v3, vcc
	v_cvt_f64_f32_e32 v[3:4], v17
	v_lshrrev_b32_e32 v15, 16, v15
	v_and_or_b32 v14, v15, s11, v14
	v_and_b32_e32 v9, 0xffff, v9
	v_mul_f64 v[3:4], v[3:4], s[2:3]
	v_lshl_or_b32 v9, v14, 16, v9
	v_mov_b32_e32 v14, s4
	v_add_co_u32_e32 v12, vcc, s5, v12
	v_addc_co_u32_e32 v13, vcc, v13, v14, vcc
	global_store_dword v[12:13], v9, off
	v_and_or_b32 v3, v4, s6, v3
	v_cmp_ne_u32_e32 vcc, 0, v3
	v_cndmask_b32_e64 v3, 0, 1, vcc
	v_lshrrev_b32_e32 v9, 8, v4
	v_bfe_u32 v14, v4, 20, 11
	v_and_or_b32 v3, v9, s7, v3
	v_sub_u32_e32 v15, 0x3f1, v14
	v_or_b32_e32 v9, 0x1000, v3
	v_med3_i32 v15, v15, 0, 13
	v_lshrrev_b32_e32 v17, v15, v9
	v_lshlrev_b32_e32 v15, v15, v17
	v_cmp_ne_u32_e32 vcc, v15, v9
	v_cndmask_b32_e64 v9, 0, 1, vcc
	v_or_b32_e32 v9, v17, v9
	v_add_u32_e32 v17, 0xfffffc10, v14
	v_mul_f16_sdwa v6, v18, v6 dst_sel:DWORD dst_unused:UNUSED_PAD src0_sel:WORD_1 src1_sel:DWORD
	v_lshl_or_b32 v14, v17, 12, v3
	v_cmp_gt_i32_e32 vcc, 1, v17
	v_fma_f16 v6, v18, v16, -v6
	v_cndmask_b32_e32 v9, v14, v9, vcc
	v_cvt_f32_f16_e32 v6, v6
	v_and_b32_e32 v14, 7, v9
	v_cmp_lt_i32_e32 vcc, 5, v14
	v_cmp_eq_u32_e64 s[0:1], 3, v14
	v_lshrrev_b32_e32 v9, 2, v9
	s_or_b64 vcc, s[0:1], vcc
	v_cvt_f64_f32_e32 v[14:15], v6
	v_addc_co_u32_e32 v6, vcc, 0, v9, vcc
	v_cmp_gt_i32_e32 vcc, 31, v17
	v_cndmask_b32_e32 v6, v11, v6, vcc
	v_cmp_ne_u32_e32 vcc, 0, v3
	v_cndmask_b32_e64 v3, 0, 1, vcc
	v_cmp_eq_u32_e32 vcc, s10, v17
	buffer_load_dword v17, off, s[20:23], 0 offset:92 ; 4-byte Folded Reload
	v_mul_f64 v[14:15], v[14:15], s[2:3]
	buffer_load_dword v18, off, s[20:23], 0 offset:88 ; 4-byte Folded Reload
	v_lshl_or_b32 v3, v3, 9, v11
	v_cndmask_b32_e32 v3, v6, v3, vcc
	v_lshrrev_b32_e32 v4, 16, v4
	v_and_or_b32 v6, v4, s11, v3
	v_and_b32_e32 v6, 0xffff, v6
	v_and_or_b32 v3, v15, s6, v14
	v_cmp_ne_u32_e32 vcc, 0, v3
	v_cndmask_b32_e64 v3, 0, 1, vcc
	v_lshrrev_b32_e32 v4, 8, v15
	v_bfe_u32 v9, v15, 20, 11
	v_and_or_b32 v3, v4, s7, v3
	v_sub_u32_e32 v14, 0x3f1, v9
	v_or_b32_e32 v4, 0x1000, v3
	v_med3_i32 v14, v14, 0, 13
	v_lshrrev_b32_e32 v16, v14, v4
	v_lshlrev_b32_e32 v14, v14, v16
	v_cmp_ne_u32_e32 vcc, v14, v4
	v_cndmask_b32_e64 v4, 0, 1, vcc
	v_add_u32_e32 v9, 0xfffffc10, v9
	v_or_b32_e32 v4, v16, v4
	v_lshl_or_b32 v14, v9, 12, v3
	v_cmp_gt_i32_e32 vcc, 1, v9
	v_cndmask_b32_e32 v4, v14, v4, vcc
	v_and_b32_e32 v14, 7, v4
	v_cmp_lt_i32_e32 vcc, 5, v14
	v_cmp_eq_u32_e64 s[0:1], 3, v14
	v_lshrrev_b32_e32 v14, 16, v8
	v_lshrrev_b32_e32 v4, 2, v4
	s_or_b64 vcc, s[0:1], vcc
	v_addc_co_u32_e32 v4, vcc, 0, v4, vcc
	v_cmp_gt_i32_e32 vcc, 31, v9
	v_cndmask_b32_e32 v4, v11, v4, vcc
	v_cmp_ne_u32_e32 vcc, 0, v3
	v_cndmask_b32_e64 v3, 0, 1, vcc
	v_lshl_or_b32 v3, v3, 9, v11
	v_cmp_eq_u32_e32 vcc, s10, v9
	v_cndmask_b32_e32 v9, v4, v3, vcc
	v_lshrrev_b32_e32 v15, 16, v15
	v_and_or_b32 v9, v15, s11, v9
	v_lshl_or_b32 v6, v9, 16, v6
	v_mov_b32_e32 v9, s4
	v_add_co_u32_e32 v12, vcc, s5, v12
	v_addc_co_u32_e32 v13, vcc, v13, v9, vcc
	global_store_dword v[12:13], v6, off
	s_waitcnt vmcnt(2)
	v_mul_f16_sdwa v16, v17, v14 dst_sel:DWORD dst_unused:UNUSED_PAD src0_sel:WORD_1 src1_sel:DWORD
	v_fma_f16 v16, v17, v8, v16
	v_cvt_f32_f16_e32 v16, v16
	v_mul_f16_sdwa v8, v17, v8 dst_sel:DWORD dst_unused:UNUSED_PAD src0_sel:WORD_1 src1_sel:DWORD
	v_fma_f16 v8, v17, v14, -v8
	v_cvt_f32_f16_e32 v8, v8
	v_cvt_f64_f32_e32 v[3:4], v16
	v_mul_f64 v[3:4], v[3:4], s[2:3]
	v_and_or_b32 v3, v4, s6, v3
	v_cmp_ne_u32_e32 vcc, 0, v3
	v_cndmask_b32_e64 v3, 0, 1, vcc
	v_lshrrev_b32_e32 v6, 8, v4
	v_bfe_u32 v9, v4, 20, 11
	v_and_or_b32 v3, v6, s7, v3
	v_sub_u32_e32 v15, 0x3f1, v9
	v_or_b32_e32 v6, 0x1000, v3
	v_med3_i32 v15, v15, 0, 13
	v_lshrrev_b32_e32 v16, v15, v6
	v_lshlrev_b32_e32 v15, v15, v16
	v_cmp_ne_u32_e32 vcc, v15, v6
	v_cndmask_b32_e64 v6, 0, 1, vcc
	v_or_b32_e32 v6, v16, v6
	v_add_u32_e32 v16, 0xfffffc10, v9
	v_lshl_or_b32 v9, v16, 12, v3
	v_cmp_gt_i32_e32 vcc, 1, v16
	v_cndmask_b32_e32 v6, v9, v6, vcc
	v_and_b32_e32 v9, 7, v6
	v_cmp_lt_i32_e32 vcc, 5, v9
	v_cmp_eq_u32_e64 s[0:1], 3, v9
	v_cvt_f64_f32_e32 v[8:9], v8
	v_lshrrev_b32_e32 v6, 2, v6
	s_or_b64 vcc, s[0:1], vcc
	v_addc_co_u32_e32 v6, vcc, 0, v6, vcc
	v_mul_f64 v[14:15], v[8:9], s[2:3]
	v_cmp_gt_i32_e32 vcc, 31, v16
	v_cndmask_b32_e32 v6, v11, v6, vcc
	v_cmp_ne_u32_e32 vcc, 0, v3
	v_cndmask_b32_e64 v3, 0, 1, vcc
	v_lshl_or_b32 v3, v3, 9, v11
	v_cmp_eq_u32_e32 vcc, s10, v16
	v_cndmask_b32_e32 v3, v6, v3, vcc
	v_lshrrev_b32_e32 v4, 16, v4
	v_and_or_b32 v6, v4, s11, v3
	v_and_or_b32 v3, v15, s6, v14
	v_cmp_ne_u32_e32 vcc, 0, v3
	v_cndmask_b32_e64 v3, 0, 1, vcc
	v_lshrrev_b32_e32 v4, 8, v15
	v_bfe_u32 v8, v15, 20, 11
	v_and_or_b32 v3, v4, s7, v3
	v_sub_u32_e32 v9, 0x3f1, v8
	v_or_b32_e32 v4, 0x1000, v3
	v_med3_i32 v9, v9, 0, 13
	v_lshrrev_b32_e32 v14, v9, v4
	v_lshlrev_b32_e32 v9, v9, v14
	v_cmp_ne_u32_e32 vcc, v9, v4
	v_cndmask_b32_e64 v4, 0, 1, vcc
	v_or_b32_e32 v4, v14, v4
	v_add_u32_e32 v14, 0xfffffc10, v8
	v_lshl_or_b32 v8, v14, 12, v3
	v_cmp_gt_i32_e32 vcc, 1, v14
	v_cndmask_b32_e32 v4, v8, v4, vcc
	v_and_b32_e32 v8, 7, v4
	v_cmp_lt_i32_e32 vcc, 5, v8
	v_cmp_eq_u32_e64 s[0:1], 3, v8
	ds_read2_b32 v[8:9], v182 offset0:70 offset1:119
	v_lshrrev_b32_e32 v4, 2, v4
	s_or_b64 vcc, s[0:1], vcc
	v_addc_co_u32_e32 v4, vcc, 0, v4, vcc
	s_waitcnt lgkmcnt(0)
	v_lshrrev_b32_e32 v16, 16, v8
	s_waitcnt vmcnt(1)
	v_mul_f16_sdwa v17, v18, v16 dst_sel:DWORD dst_unused:UNUSED_PAD src0_sel:WORD_1 src1_sel:DWORD
	v_fma_f16 v17, v18, v8, v17
	v_cmp_gt_i32_e32 vcc, 31, v14
	v_cvt_f32_f16_e32 v17, v17
	v_cndmask_b32_e32 v4, v11, v4, vcc
	v_cmp_ne_u32_e32 vcc, 0, v3
	v_cndmask_b32_e64 v3, 0, 1, vcc
	v_lshl_or_b32 v3, v3, 9, v11
	v_cmp_eq_u32_e32 vcc, s10, v14
	v_cndmask_b32_e32 v14, v4, v3, vcc
	v_cvt_f64_f32_e32 v[3:4], v17
	v_lshrrev_b32_e32 v15, 16, v15
	v_and_or_b32 v14, v15, s11, v14
	v_and_b32_e32 v6, 0xffff, v6
	v_mul_f64 v[3:4], v[3:4], s[2:3]
	v_lshl_or_b32 v6, v14, 16, v6
	v_mov_b32_e32 v14, s4
	v_add_co_u32_e32 v12, vcc, s5, v12
	v_addc_co_u32_e32 v13, vcc, v13, v14, vcc
	global_store_dword v[12:13], v6, off
	v_and_or_b32 v3, v4, s6, v3
	v_cmp_ne_u32_e32 vcc, 0, v3
	v_cndmask_b32_e64 v3, 0, 1, vcc
	v_lshrrev_b32_e32 v6, 8, v4
	v_bfe_u32 v14, v4, 20, 11
	v_and_or_b32 v3, v6, s7, v3
	v_sub_u32_e32 v15, 0x3f1, v14
	v_or_b32_e32 v6, 0x1000, v3
	v_med3_i32 v15, v15, 0, 13
	v_lshrrev_b32_e32 v17, v15, v6
	v_lshlrev_b32_e32 v15, v15, v17
	v_cmp_ne_u32_e32 vcc, v15, v6
	v_cndmask_b32_e64 v6, 0, 1, vcc
	v_or_b32_e32 v6, v17, v6
	v_add_u32_e32 v17, 0xfffffc10, v14
	v_lshl_or_b32 v14, v17, 12, v3
	v_cmp_gt_i32_e32 vcc, 1, v17
	v_cndmask_b32_e32 v6, v14, v6, vcc
	v_and_b32_e32 v14, 7, v6
	v_cmp_lt_i32_e32 vcc, 5, v14
	v_cmp_eq_u32_e64 s[0:1], 3, v14
	v_lshrrev_b32_e32 v6, 2, v6
	s_or_b64 vcc, s[0:1], vcc
	v_addc_co_u32_e32 v6, vcc, 0, v6, vcc
	v_cmp_gt_i32_e32 vcc, 31, v17
	v_cndmask_b32_e32 v6, v11, v6, vcc
	v_cmp_ne_u32_e32 vcc, 0, v3
	v_cndmask_b32_e64 v3, 0, 1, vcc
	v_cmp_eq_u32_e32 vcc, s10, v17
	buffer_load_dword v17, off, s[20:23], 0 offset:84 ; 4-byte Folded Reload
	v_mul_f16_sdwa v8, v18, v8 dst_sel:DWORD dst_unused:UNUSED_PAD src0_sel:WORD_1 src1_sel:DWORD
	v_fma_f16 v8, v18, v16, -v8
	v_cvt_f32_f16_e32 v8, v8
	v_lshl_or_b32 v3, v3, 9, v11
	v_cndmask_b32_e32 v3, v6, v3, vcc
	v_lshrrev_b32_e32 v4, 16, v4
	v_cvt_f64_f32_e32 v[14:15], v8
	v_and_or_b32 v6, v4, s11, v3
	v_and_b32_e32 v6, 0xffff, v6
	v_mul_f64 v[14:15], v[14:15], s[2:3]
	v_and_or_b32 v3, v15, s6, v14
	v_cmp_ne_u32_e32 vcc, 0, v3
	v_cndmask_b32_e64 v3, 0, 1, vcc
	v_lshrrev_b32_e32 v4, 8, v15
	v_bfe_u32 v8, v15, 20, 11
	v_and_or_b32 v3, v4, s7, v3
	v_sub_u32_e32 v14, 0x3f1, v8
	v_or_b32_e32 v4, 0x1000, v3
	v_med3_i32 v14, v14, 0, 13
	v_lshrrev_b32_e32 v16, v14, v4
	v_lshlrev_b32_e32 v14, v14, v16
	v_cmp_ne_u32_e32 vcc, v14, v4
	v_cndmask_b32_e64 v4, 0, 1, vcc
	v_add_u32_e32 v8, 0xfffffc10, v8
	v_or_b32_e32 v4, v16, v4
	v_lshl_or_b32 v14, v8, 12, v3
	v_cmp_gt_i32_e32 vcc, 1, v8
	v_cndmask_b32_e32 v4, v14, v4, vcc
	v_and_b32_e32 v14, 7, v4
	v_cmp_lt_i32_e32 vcc, 5, v14
	v_cmp_eq_u32_e64 s[0:1], 3, v14
	v_lshrrev_b32_e32 v14, 16, v10
	v_lshrrev_b32_e32 v4, 2, v4
	s_or_b64 vcc, s[0:1], vcc
	v_addc_co_u32_e32 v4, vcc, 0, v4, vcc
	v_cmp_gt_i32_e32 vcc, 31, v8
	v_cndmask_b32_e32 v4, v11, v4, vcc
	v_cmp_ne_u32_e32 vcc, 0, v3
	v_cndmask_b32_e64 v3, 0, 1, vcc
	v_lshl_or_b32 v3, v3, 9, v11
	v_cmp_eq_u32_e32 vcc, s10, v8
	v_cndmask_b32_e32 v8, v4, v3, vcc
	v_lshrrev_b32_e32 v15, 16, v15
	v_and_or_b32 v8, v15, s11, v8
	v_lshl_or_b32 v6, v8, 16, v6
	v_mov_b32_e32 v8, s4
	v_add_co_u32_e32 v12, vcc, s5, v12
	v_addc_co_u32_e32 v13, vcc, v13, v8, vcc
	global_store_dword v[12:13], v6, off
	s_waitcnt vmcnt(1)
	v_mul_f16_sdwa v16, v17, v14 dst_sel:DWORD dst_unused:UNUSED_PAD src0_sel:WORD_1 src1_sel:DWORD
	v_fma_f16 v16, v17, v10, v16
	v_mul_f16_sdwa v10, v17, v10 dst_sel:DWORD dst_unused:UNUSED_PAD src0_sel:WORD_1 src1_sel:DWORD
	v_fma_f16 v10, v17, v14, -v10
	buffer_load_dword v17, off, s[20:23], 0 offset:80 ; 4-byte Folded Reload
	v_cvt_f32_f16_e32 v16, v16
	v_cvt_f32_f16_e32 v10, v10
	v_cvt_f64_f32_e32 v[3:4], v16
	v_mul_f64 v[3:4], v[3:4], s[2:3]
	v_and_or_b32 v3, v4, s6, v3
	v_cmp_ne_u32_e32 vcc, 0, v3
	v_cndmask_b32_e64 v3, 0, 1, vcc
	v_lshrrev_b32_e32 v6, 8, v4
	v_bfe_u32 v8, v4, 20, 11
	v_and_or_b32 v3, v6, s7, v3
	v_sub_u32_e32 v15, 0x3f1, v8
	v_or_b32_e32 v6, 0x1000, v3
	v_med3_i32 v15, v15, 0, 13
	v_lshrrev_b32_e32 v16, v15, v6
	v_lshlrev_b32_e32 v15, v15, v16
	v_cmp_ne_u32_e32 vcc, v15, v6
	v_cndmask_b32_e64 v6, 0, 1, vcc
	v_add_u32_e32 v8, 0xfffffc10, v8
	v_or_b32_e32 v6, v16, v6
	v_lshl_or_b32 v15, v8, 12, v3
	v_cmp_gt_i32_e32 vcc, 1, v8
	v_cndmask_b32_e32 v6, v15, v6, vcc
	v_and_b32_e32 v15, 7, v6
	v_cmp_lt_i32_e32 vcc, 5, v15
	v_cmp_eq_u32_e64 s[0:1], 3, v15
	v_cvt_f64_f32_e32 v[14:15], v10
	v_lshrrev_b32_e32 v6, 2, v6
	s_or_b64 vcc, s[0:1], vcc
	v_addc_co_u32_e32 v6, vcc, 0, v6, vcc
	v_mul_f64 v[14:15], v[14:15], s[2:3]
	v_cmp_gt_i32_e32 vcc, 31, v8
	v_cndmask_b32_e32 v6, v11, v6, vcc
	v_cmp_ne_u32_e32 vcc, 0, v3
	v_cndmask_b32_e64 v3, 0, 1, vcc
	v_lshl_or_b32 v3, v3, 9, v11
	v_cmp_eq_u32_e32 vcc, s10, v8
	v_cndmask_b32_e32 v3, v6, v3, vcc
	v_lshrrev_b32_e32 v4, 16, v4
	v_and_or_b32 v6, v4, s11, v3
	v_and_or_b32 v3, v15, s6, v14
	v_cmp_ne_u32_e32 vcc, 0, v3
	v_cndmask_b32_e64 v3, 0, 1, vcc
	v_lshrrev_b32_e32 v4, 8, v15
	v_and_or_b32 v8, v4, s7, v3
	v_bfe_u32 v4, v15, 20, 11
	v_sub_u32_e32 v10, 0x3f1, v4
	v_or_b32_e32 v3, 0x1000, v8
	v_med3_i32 v10, v10, 0, 13
	v_lshrrev_b32_e32 v14, v10, v3
	v_lshlrev_b32_e32 v10, v10, v14
	v_cmp_ne_u32_e32 vcc, v10, v3
	v_cndmask_b32_e64 v3, 0, 1, vcc
	v_add_u32_e32 v10, 0xfffffc10, v4
	v_or_b32_e32 v3, v14, v3
	v_lshl_or_b32 v4, v10, 12, v8
	v_cmp_gt_i32_e32 vcc, 1, v10
	v_cndmask_b32_e32 v3, v4, v3, vcc
	v_and_b32_e32 v4, 7, v3
	v_cmp_lt_i32_e32 vcc, 5, v4
	v_cmp_eq_u32_e64 s[0:1], 3, v4
	v_lshrrev_b32_e32 v3, 2, v3
	s_or_b64 vcc, s[0:1], vcc
	v_addc_co_u32_e32 v14, vcc, 0, v3, vcc
	ds_read2_b32 v[3:4], v134 offset0:196 offset1:245
	v_cmp_gt_i32_e32 vcc, 31, v10
	s_waitcnt vmcnt(0)
	v_mov_b32_e32 v19, v17
	v_cndmask_b32_e32 v14, v11, v14, vcc
	v_cmp_ne_u32_e32 vcc, 0, v8
	s_waitcnt lgkmcnt(0)
	v_lshrrev_b32_e32 v18, 16, v3
	v_mul_f16_sdwa v16, v17, v18 dst_sel:DWORD dst_unused:UNUSED_PAD src0_sel:WORD_1 src1_sel:DWORD
	v_fma_f16 v16, v17, v3, v16
	v_cvt_f32_f16_e32 v16, v16
	v_cndmask_b32_e64 v8, 0, 1, vcc
	v_lshl_or_b32 v8, v8, 9, v11
	v_cmp_eq_u32_e32 vcc, s10, v10
	v_cvt_f64_f32_e32 v[16:17], v16
	v_cndmask_b32_e32 v8, v14, v8, vcc
	v_lshrrev_b32_e32 v10, 16, v15
	v_and_or_b32 v8, v10, s11, v8
	v_mul_f64 v[14:15], v[16:17], s[2:3]
	v_and_b32_e32 v6, 0xffff, v6
	v_lshl_or_b32 v6, v8, 16, v6
	v_mov_b32_e32 v8, s4
	v_add_co_u32_e32 v12, vcc, s5, v12
	v_addc_co_u32_e32 v13, vcc, v13, v8, vcc
	global_store_dword v[12:13], v6, off
	v_and_or_b32 v6, v15, s6, v14
	v_cmp_ne_u32_e32 vcc, 0, v6
	v_cndmask_b32_e64 v6, 0, 1, vcc
	v_lshrrev_b32_e32 v8, 8, v15
	v_bfe_u32 v10, v15, 20, 11
	v_and_or_b32 v6, v8, s7, v6
	v_sub_u32_e32 v14, 0x3f1, v10
	v_mul_f16_sdwa v3, v19, v3 dst_sel:DWORD dst_unused:UNUSED_PAD src0_sel:WORD_1 src1_sel:DWORD
	v_or_b32_e32 v8, 0x1000, v6
	v_med3_i32 v14, v14, 0, 13
	v_fma_f16 v3, v19, v18, -v3
	v_lshrrev_b32_e32 v16, v14, v8
	v_cvt_f32_f16_e32 v3, v3
	v_lshlrev_b32_e32 v14, v14, v16
	v_cmp_ne_u32_e32 vcc, v14, v8
	v_cndmask_b32_e64 v8, 0, 1, vcc
	v_or_b32_e32 v8, v16, v8
	v_add_u32_e32 v10, 0xfffffc10, v10
	v_cvt_f64_f32_e32 v[16:17], v3
	v_lshl_or_b32 v14, v10, 12, v6
	v_cmp_gt_i32_e32 vcc, 1, v10
	v_cndmask_b32_e32 v8, v14, v8, vcc
	v_and_b32_e32 v14, 7, v8
	v_cmp_lt_i32_e32 vcc, 5, v14
	v_cmp_eq_u32_e64 s[0:1], 3, v14
	v_mul_f64 v[16:17], v[16:17], s[2:3]
	v_lshrrev_b32_e32 v8, 2, v8
	s_or_b64 vcc, s[0:1], vcc
	v_addc_co_u32_e32 v3, vcc, 0, v8, vcc
	v_cmp_gt_i32_e32 vcc, 31, v10
	v_cndmask_b32_e32 v3, v11, v3, vcc
	v_cmp_ne_u32_e32 vcc, 0, v6
	v_cndmask_b32_e64 v6, 0, 1, vcc
	v_lshl_or_b32 v6, v6, 9, v11
	v_cmp_eq_u32_e32 vcc, s10, v10
	v_cndmask_b32_e32 v3, v3, v6, vcc
	v_lshrrev_b32_e32 v6, 16, v15
	v_and_or_b32 v3, v6, s11, v3
	v_and_or_b32 v6, v17, s6, v16
	v_cmp_ne_u32_e32 vcc, 0, v6
	v_cndmask_b32_e64 v6, 0, 1, vcc
	v_lshrrev_b32_e32 v8, 8, v17
	v_bfe_u32 v10, v17, 20, 11
	v_and_or_b32 v6, v8, s7, v6
	v_sub_u32_e32 v14, 0x3f1, v10
	v_or_b32_e32 v8, 0x1000, v6
	v_med3_i32 v14, v14, 0, 13
	v_lshrrev_b32_e32 v15, v14, v8
	v_lshlrev_b32_e32 v14, v14, v15
	v_cmp_ne_u32_e32 vcc, v14, v8
	v_cndmask_b32_e64 v8, 0, 1, vcc
	v_or_b32_e32 v8, v15, v8
	buffer_load_dword v15, off, s[20:23], 0 offset:76 ; 4-byte Folded Reload
	v_add_u32_e32 v10, 0xfffffc10, v10
	v_lshl_or_b32 v14, v10, 12, v6
	v_cmp_gt_i32_e32 vcc, 1, v10
	v_cndmask_b32_e32 v8, v14, v8, vcc
	v_and_b32_e32 v14, 7, v8
	v_lshrrev_b32_e32 v16, 16, v5
	v_cmp_lt_i32_e32 vcc, 5, v14
	v_cmp_eq_u32_e64 s[0:1], 3, v14
	v_lshrrev_b32_e32 v8, 2, v8
	s_or_b64 vcc, s[0:1], vcc
	v_addc_co_u32_e32 v8, vcc, 0, v8, vcc
	v_cmp_gt_i32_e32 vcc, 31, v10
	v_cndmask_b32_e32 v8, v11, v8, vcc
	v_cmp_ne_u32_e32 vcc, 0, v6
	v_cndmask_b32_e64 v6, 0, 1, vcc
	v_lshl_or_b32 v6, v6, 9, v11
	v_cmp_eq_u32_e32 vcc, s10, v10
	v_cndmask_b32_e32 v6, v8, v6, vcc
	v_lshrrev_b32_e32 v8, 16, v17
	v_and_or_b32 v6, v8, s11, v6
	v_and_b32_e32 v3, 0xffff, v3
	v_lshl_or_b32 v3, v6, 16, v3
	v_mov_b32_e32 v6, s9
	v_add_co_u32_e32 v12, vcc, s8, v12
	v_addc_co_u32_e32 v13, vcc, v13, v6, vcc
	global_store_dword v[12:13], v3, off
	s_waitcnt vmcnt(1)
	v_mul_f16_sdwa v14, v15, v16 dst_sel:DWORD dst_unused:UNUSED_PAD src0_sel:WORD_1 src1_sel:DWORD
	v_mov_b32_e32 v18, v15
	v_fma_f16 v14, v15, v5, v14
	v_mul_f16_sdwa v5, v18, v5 dst_sel:DWORD dst_unused:UNUSED_PAD src0_sel:WORD_1 src1_sel:DWORD
	v_fma_f16 v5, v18, v16, -v5
	buffer_load_dword v18, off, s[20:23], 0 offset:72 ; 4-byte Folded Reload
	v_cvt_f32_f16_e32 v14, v14
	v_cvt_f32_f16_e32 v5, v5
	v_cvt_f64_f32_e32 v[14:15], v14
	v_mul_f64 v[14:15], v[14:15], s[2:3]
	v_and_or_b32 v3, v15, s6, v14
	v_cmp_ne_u32_e32 vcc, 0, v3
	v_cndmask_b32_e64 v3, 0, 1, vcc
	v_lshrrev_b32_e32 v6, 8, v15
	v_bfe_u32 v8, v15, 20, 11
	v_and_or_b32 v3, v6, s7, v3
	v_sub_u32_e32 v10, 0x3f1, v8
	v_or_b32_e32 v6, 0x1000, v3
	v_med3_i32 v10, v10, 0, 13
	v_lshrrev_b32_e32 v14, v10, v6
	v_lshlrev_b32_e32 v10, v10, v14
	v_cmp_ne_u32_e32 vcc, v10, v6
	v_cndmask_b32_e64 v6, 0, 1, vcc
	v_add_u32_e32 v8, 0xfffffc10, v8
	v_or_b32_e32 v6, v14, v6
	v_lshl_or_b32 v10, v8, 12, v3
	v_cmp_gt_i32_e32 vcc, 1, v8
	v_cndmask_b32_e32 v6, v10, v6, vcc
	v_and_b32_e32 v10, 7, v6
	v_cmp_lt_i32_e32 vcc, 5, v10
	v_cmp_eq_u32_e64 s[0:1], 3, v10
	v_lshrrev_b32_e32 v10, 2, v6
	v_cvt_f64_f32_e32 v[5:6], v5
	s_or_b64 vcc, s[0:1], vcc
	v_addc_co_u32_e32 v10, vcc, 0, v10, vcc
	v_mul_f64 v[16:17], v[5:6], s[2:3]
	v_cmp_gt_i32_e32 vcc, 31, v8
	v_cndmask_b32_e32 v10, v11, v10, vcc
	v_cmp_ne_u32_e32 vcc, 0, v3
	v_cndmask_b32_e64 v3, 0, 1, vcc
	v_lshl_or_b32 v3, v3, 9, v11
	v_cmp_eq_u32_e32 vcc, s10, v8
	v_cndmask_b32_e32 v3, v10, v3, vcc
	v_lshrrev_b32_e32 v5, 16, v15
	v_and_or_b32 v3, v5, s11, v3
	v_and_or_b32 v5, v17, s6, v16
	v_cmp_ne_u32_e32 vcc, 0, v5
	v_cndmask_b32_e64 v5, 0, 1, vcc
	v_lshrrev_b32_e32 v6, 8, v17
	v_and_or_b32 v8, v6, s7, v5
	v_bfe_u32 v6, v17, 20, 11
	v_sub_u32_e32 v10, 0x3f1, v6
	v_or_b32_e32 v5, 0x1000, v8
	v_med3_i32 v10, v10, 0, 13
	v_lshrrev_b32_e32 v14, v10, v5
	v_lshlrev_b32_e32 v10, v10, v14
	v_cmp_ne_u32_e32 vcc, v10, v5
	v_cndmask_b32_e64 v5, 0, 1, vcc
	v_add_u32_e32 v10, 0xfffffc10, v6
	v_or_b32_e32 v5, v14, v5
	v_lshl_or_b32 v6, v10, 12, v8
	v_cmp_gt_i32_e32 vcc, 1, v10
	v_cndmask_b32_e32 v5, v6, v5, vcc
	v_and_b32_e32 v6, 7, v5
	v_cmp_lt_i32_e32 vcc, 5, v6
	v_cmp_eq_u32_e64 s[0:1], 3, v6
	v_lshrrev_b32_e32 v5, 2, v5
	s_or_b64 vcc, s[0:1], vcc
	v_addc_co_u32_e32 v14, vcc, 0, v5, vcc
	ds_read2_b32 v[5:6], v184 offset0:114 offset1:163
	v_cmp_gt_i32_e32 vcc, 31, v10
	v_cndmask_b32_e32 v14, v11, v14, vcc
	v_cmp_ne_u32_e32 vcc, 0, v8
	v_cndmask_b32_e64 v8, 0, 1, vcc
	s_waitcnt lgkmcnt(0)
	v_lshrrev_b32_e32 v16, 16, v5
	s_waitcnt vmcnt(0)
	v_mul_f16_sdwa v15, v18, v16 dst_sel:DWORD dst_unused:UNUSED_PAD src0_sel:WORD_1 src1_sel:DWORD
	v_fma_f16 v15, v18, v5, v15
	v_cvt_f32_f16_e32 v15, v15
	v_lshl_or_b32 v8, v8, 9, v11
	v_cmp_eq_u32_e32 vcc, s10, v10
	v_cndmask_b32_e32 v8, v14, v8, vcc
	v_cvt_f64_f32_e32 v[14:15], v15
	v_lshrrev_b32_e32 v10, 16, v17
	v_and_or_b32 v8, v10, s11, v8
	v_and_b32_e32 v3, 0xffff, v3
	v_mul_f64 v[14:15], v[14:15], s[2:3]
	v_lshl_or_b32 v3, v8, 16, v3
	v_mov_b32_e32 v8, s4
	v_add_co_u32_e32 v12, vcc, s5, v12
	v_addc_co_u32_e32 v13, vcc, v13, v8, vcc
	global_store_dword v[12:13], v3, off
	v_and_or_b32 v3, v15, s6, v14
	v_cmp_ne_u32_e32 vcc, 0, v3
	v_cndmask_b32_e64 v3, 0, 1, vcc
	v_lshrrev_b32_e32 v8, 8, v15
	v_bfe_u32 v10, v15, 20, 11
	v_and_or_b32 v3, v8, s7, v3
	v_sub_u32_e32 v14, 0x3f1, v10
	v_mul_f16_sdwa v5, v18, v5 dst_sel:DWORD dst_unused:UNUSED_PAD src0_sel:WORD_1 src1_sel:DWORD
	v_or_b32_e32 v8, 0x1000, v3
	v_med3_i32 v14, v14, 0, 13
	v_fma_f16 v5, v18, v16, -v5
	v_lshrrev_b32_e32 v17, v14, v8
	v_cvt_f32_f16_e32 v5, v5
	v_lshlrev_b32_e32 v14, v14, v17
	v_cmp_ne_u32_e32 vcc, v14, v8
	v_cndmask_b32_e64 v8, 0, 1, vcc
	v_or_b32_e32 v8, v17, v8
	v_add_u32_e32 v10, 0xfffffc10, v10
	v_cvt_f64_f32_e32 v[16:17], v5
	v_lshl_or_b32 v14, v10, 12, v3
	v_cmp_gt_i32_e32 vcc, 1, v10
	v_cndmask_b32_e32 v8, v14, v8, vcc
	v_and_b32_e32 v14, 7, v8
	v_cmp_lt_i32_e32 vcc, 5, v14
	v_cmp_eq_u32_e64 s[0:1], 3, v14
	v_mul_f64 v[16:17], v[16:17], s[2:3]
	v_lshrrev_b32_e32 v8, 2, v8
	s_or_b64 vcc, s[0:1], vcc
	v_addc_co_u32_e32 v5, vcc, 0, v8, vcc
	v_cmp_gt_i32_e32 vcc, 31, v10
	v_cndmask_b32_e32 v5, v11, v5, vcc
	v_cmp_ne_u32_e32 vcc, 0, v3
	v_cndmask_b32_e64 v3, 0, 1, vcc
	v_lshl_or_b32 v3, v3, 9, v11
	v_cmp_eq_u32_e32 vcc, s10, v10
	v_cndmask_b32_e32 v3, v5, v3, vcc
	v_lshrrev_b32_e32 v5, 16, v15
	v_and_or_b32 v3, v5, s11, v3
	v_and_or_b32 v5, v17, s6, v16
	v_cmp_ne_u32_e32 vcc, 0, v5
	v_cndmask_b32_e64 v5, 0, 1, vcc
	v_lshrrev_b32_e32 v8, 8, v17
	v_bfe_u32 v10, v17, 20, 11
	v_and_or_b32 v5, v8, s7, v5
	v_sub_u32_e32 v14, 0x3f1, v10
	v_or_b32_e32 v8, 0x1000, v5
	v_med3_i32 v14, v14, 0, 13
	v_lshrrev_b32_e32 v15, v14, v8
	v_lshlrev_b32_e32 v14, v14, v15
	v_cmp_ne_u32_e32 vcc, v14, v8
	v_cndmask_b32_e64 v8, 0, 1, vcc
	v_or_b32_e32 v8, v15, v8
	buffer_load_dword v15, off, s[20:23], 0 offset:68 ; 4-byte Folded Reload
	v_add_u32_e32 v10, 0xfffffc10, v10
	v_lshl_or_b32 v14, v10, 12, v5
	v_cmp_gt_i32_e32 vcc, 1, v10
	v_cndmask_b32_e32 v8, v14, v8, vcc
	v_and_b32_e32 v14, 7, v8
	v_lshrrev_b32_e32 v16, 16, v7
	v_cmp_lt_i32_e32 vcc, 5, v14
	v_cmp_eq_u32_e64 s[0:1], 3, v14
	v_lshrrev_b32_e32 v8, 2, v8
	s_or_b64 vcc, s[0:1], vcc
	v_addc_co_u32_e32 v8, vcc, 0, v8, vcc
	v_cmp_gt_i32_e32 vcc, 31, v10
	v_cndmask_b32_e32 v8, v11, v8, vcc
	v_cmp_ne_u32_e32 vcc, 0, v5
	v_cndmask_b32_e64 v5, 0, 1, vcc
	v_lshl_or_b32 v5, v5, 9, v11
	v_cmp_eq_u32_e32 vcc, s10, v10
	v_cndmask_b32_e32 v5, v8, v5, vcc
	v_lshrrev_b32_e32 v8, 16, v17
	v_and_or_b32 v5, v8, s11, v5
	v_and_b32_e32 v3, 0xffff, v3
	v_lshl_or_b32 v3, v5, 16, v3
	v_mov_b32_e32 v5, s4
	v_add_co_u32_e32 v12, vcc, s5, v12
	v_addc_co_u32_e32 v13, vcc, v13, v5, vcc
	global_store_dword v[12:13], v3, off
	s_waitcnt vmcnt(1)
	v_mul_f16_sdwa v14, v15, v16 dst_sel:DWORD dst_unused:UNUSED_PAD src0_sel:WORD_1 src1_sel:DWORD
	v_mov_b32_e32 v18, v15
	v_fma_f16 v14, v15, v7, v14
	v_mul_f16_sdwa v7, v18, v7 dst_sel:DWORD dst_unused:UNUSED_PAD src0_sel:WORD_1 src1_sel:DWORD
	v_fma_f16 v7, v18, v16, -v7
	buffer_load_dword v18, off, s[20:23], 0 offset:64 ; 4-byte Folded Reload
	v_cvt_f32_f16_e32 v14, v14
	v_cvt_f32_f16_e32 v7, v7
	v_cvt_f64_f32_e32 v[14:15], v14
	v_mul_f64 v[14:15], v[14:15], s[2:3]
	v_and_or_b32 v3, v15, s6, v14
	v_cmp_ne_u32_e32 vcc, 0, v3
	v_cndmask_b32_e64 v3, 0, 1, vcc
	v_lshrrev_b32_e32 v5, 8, v15
	v_bfe_u32 v8, v15, 20, 11
	v_and_or_b32 v3, v5, s7, v3
	v_sub_u32_e32 v10, 0x3f1, v8
	v_or_b32_e32 v5, 0x1000, v3
	v_med3_i32 v10, v10, 0, 13
	v_lshrrev_b32_e32 v14, v10, v5
	v_lshlrev_b32_e32 v10, v10, v14
	v_cmp_ne_u32_e32 vcc, v10, v5
	v_cndmask_b32_e64 v5, 0, 1, vcc
	v_add_u32_e32 v10, 0xfffffc10, v8
	v_or_b32_e32 v5, v14, v5
	v_lshl_or_b32 v8, v10, 12, v3
	v_cmp_gt_i32_e32 vcc, 1, v10
	v_cndmask_b32_e32 v5, v8, v5, vcc
	v_and_b32_e32 v8, 7, v5
	v_cmp_lt_i32_e32 vcc, 5, v8
	v_cmp_eq_u32_e64 s[0:1], 3, v8
	v_cvt_f64_f32_e32 v[7:8], v7
	v_lshrrev_b32_e32 v5, 2, v5
	s_or_b64 vcc, s[0:1], vcc
	v_addc_co_u32_e32 v5, vcc, 0, v5, vcc
	v_mul_f64 v[16:17], v[7:8], s[2:3]
	v_cmp_gt_i32_e32 vcc, 31, v10
	v_cndmask_b32_e32 v5, v11, v5, vcc
	v_cmp_ne_u32_e32 vcc, 0, v3
	v_cndmask_b32_e64 v3, 0, 1, vcc
	v_lshl_or_b32 v3, v3, 9, v11
	v_cmp_eq_u32_e32 vcc, s10, v10
	v_cndmask_b32_e32 v3, v5, v3, vcc
	v_lshrrev_b32_e32 v5, 16, v15
	v_and_or_b32 v3, v5, s11, v3
	v_and_or_b32 v5, v17, s6, v16
	v_cmp_ne_u32_e32 vcc, 0, v5
	v_cndmask_b32_e64 v5, 0, 1, vcc
	v_lshrrev_b32_e32 v7, 8, v17
	v_bfe_u32 v8, v17, 20, 11
	v_and_or_b32 v5, v7, s7, v5
	v_sub_u32_e32 v10, 0x3f1, v8
	v_or_b32_e32 v7, 0x1000, v5
	v_med3_i32 v10, v10, 0, 13
	v_lshrrev_b32_e32 v14, v10, v7
	v_lshlrev_b32_e32 v10, v10, v14
	v_cmp_ne_u32_e32 vcc, v10, v7
	v_cndmask_b32_e64 v7, 0, 1, vcc
	v_add_u32_e32 v10, 0xfffffc10, v8
	v_or_b32_e32 v7, v14, v7
	v_lshl_or_b32 v8, v10, 12, v5
	v_cmp_gt_i32_e32 vcc, 1, v10
	v_cndmask_b32_e32 v7, v8, v7, vcc
	v_and_b32_e32 v8, 7, v7
	v_cmp_lt_i32_e32 vcc, 5, v8
	v_cmp_eq_u32_e64 s[0:1], 3, v8
	v_lshrrev_b32_e32 v7, 2, v7
	s_or_b64 vcc, s[0:1], vcc
	v_addc_co_u32_e32 v14, vcc, 0, v7, vcc
	ds_read2_b32 v[7:8], v186 offset0:32 offset1:81
	v_cmp_gt_i32_e32 vcc, 31, v10
	v_cndmask_b32_e32 v14, v11, v14, vcc
	v_cmp_ne_u32_e32 vcc, 0, v5
	v_cndmask_b32_e64 v5, 0, 1, vcc
	s_waitcnt lgkmcnt(0)
	v_lshrrev_b32_e32 v16, 16, v7
	s_waitcnt vmcnt(0)
	v_mul_f16_sdwa v15, v18, v16 dst_sel:DWORD dst_unused:UNUSED_PAD src0_sel:WORD_1 src1_sel:DWORD
	v_fma_f16 v15, v18, v7, v15
	v_cvt_f32_f16_e32 v15, v15
	v_lshl_or_b32 v5, v5, 9, v11
	v_cmp_eq_u32_e32 vcc, s10, v10
	v_cndmask_b32_e32 v5, v14, v5, vcc
	v_cvt_f64_f32_e32 v[14:15], v15
	v_lshrrev_b32_e32 v10, 16, v17
	v_and_or_b32 v5, v10, s11, v5
	v_and_b32_e32 v3, 0xffff, v3
	v_mul_f64 v[14:15], v[14:15], s[2:3]
	v_lshl_or_b32 v3, v5, 16, v3
	v_mov_b32_e32 v5, s4
	v_add_co_u32_e32 v12, vcc, s5, v12
	v_addc_co_u32_e32 v13, vcc, v13, v5, vcc
	global_store_dword v[12:13], v3, off
	v_and_or_b32 v3, v15, s6, v14
	v_cmp_ne_u32_e32 vcc, 0, v3
	v_cndmask_b32_e64 v3, 0, 1, vcc
	v_lshrrev_b32_e32 v5, 8, v15
	v_bfe_u32 v10, v15, 20, 11
	v_and_or_b32 v3, v5, s7, v3
	v_sub_u32_e32 v14, 0x3f1, v10
	v_mul_f16_sdwa v7, v18, v7 dst_sel:DWORD dst_unused:UNUSED_PAD src0_sel:WORD_1 src1_sel:DWORD
	v_or_b32_e32 v5, 0x1000, v3
	v_med3_i32 v14, v14, 0, 13
	v_fma_f16 v7, v18, v16, -v7
	v_lshrrev_b32_e32 v17, v14, v5
	v_cvt_f32_f16_e32 v7, v7
	v_lshlrev_b32_e32 v14, v14, v17
	v_cmp_ne_u32_e32 vcc, v14, v5
	v_cndmask_b32_e64 v5, 0, 1, vcc
	v_or_b32_e32 v5, v17, v5
	v_add_u32_e32 v10, 0xfffffc10, v10
	v_cvt_f64_f32_e32 v[16:17], v7
	v_lshl_or_b32 v14, v10, 12, v3
	v_cmp_gt_i32_e32 vcc, 1, v10
	v_cndmask_b32_e32 v5, v14, v5, vcc
	v_and_b32_e32 v14, 7, v5
	v_cmp_lt_i32_e32 vcc, 5, v14
	v_cmp_eq_u32_e64 s[0:1], 3, v14
	v_mul_f64 v[16:17], v[16:17], s[2:3]
	v_lshrrev_b32_e32 v5, 2, v5
	s_or_b64 vcc, s[0:1], vcc
	v_addc_co_u32_e32 v5, vcc, 0, v5, vcc
	v_cmp_gt_i32_e32 vcc, 31, v10
	v_cndmask_b32_e32 v5, v11, v5, vcc
	v_cmp_ne_u32_e32 vcc, 0, v3
	v_cndmask_b32_e64 v3, 0, 1, vcc
	v_lshl_or_b32 v3, v3, 9, v11
	v_cmp_eq_u32_e32 vcc, s10, v10
	v_cndmask_b32_e32 v3, v5, v3, vcc
	v_lshrrev_b32_e32 v5, 16, v15
	v_and_or_b32 v3, v5, s11, v3
	v_and_or_b32 v5, v17, s6, v16
	v_cmp_ne_u32_e32 vcc, 0, v5
	v_cndmask_b32_e64 v5, 0, 1, vcc
	v_lshrrev_b32_e32 v7, 8, v17
	v_bfe_u32 v10, v17, 20, 11
	v_and_or_b32 v5, v7, s7, v5
	v_sub_u32_e32 v14, 0x3f1, v10
	v_or_b32_e32 v7, 0x1000, v5
	v_med3_i32 v14, v14, 0, 13
	v_lshrrev_b32_e32 v15, v14, v7
	v_lshlrev_b32_e32 v14, v14, v15
	v_cmp_ne_u32_e32 vcc, v14, v7
	v_cndmask_b32_e64 v7, 0, 1, vcc
	v_or_b32_e32 v7, v15, v7
	buffer_load_dword v15, off, s[20:23], 0 offset:60 ; 4-byte Folded Reload
	v_add_u32_e32 v10, 0xfffffc10, v10
	v_lshl_or_b32 v14, v10, 12, v5
	v_cmp_gt_i32_e32 vcc, 1, v10
	v_cndmask_b32_e32 v7, v14, v7, vcc
	v_and_b32_e32 v14, 7, v7
	v_lshrrev_b32_e32 v16, 16, v9
	v_cmp_lt_i32_e32 vcc, 5, v14
	v_cmp_eq_u32_e64 s[0:1], 3, v14
	v_lshrrev_b32_e32 v7, 2, v7
	s_or_b64 vcc, s[0:1], vcc
	v_addc_co_u32_e32 v7, vcc, 0, v7, vcc
	v_cmp_gt_i32_e32 vcc, 31, v10
	v_cndmask_b32_e32 v7, v11, v7, vcc
	v_cmp_ne_u32_e32 vcc, 0, v5
	v_cndmask_b32_e64 v5, 0, 1, vcc
	v_lshl_or_b32 v5, v5, 9, v11
	v_cmp_eq_u32_e32 vcc, s10, v10
	v_cndmask_b32_e32 v5, v7, v5, vcc
	v_lshrrev_b32_e32 v7, 16, v17
	v_and_or_b32 v5, v7, s11, v5
	v_and_b32_e32 v3, 0xffff, v3
	v_lshl_or_b32 v3, v5, 16, v3
	v_mov_b32_e32 v5, s4
	v_add_co_u32_e32 v12, vcc, s5, v12
	v_addc_co_u32_e32 v13, vcc, v13, v5, vcc
	global_store_dword v[12:13], v3, off
	s_waitcnt vmcnt(1)
	v_mul_f16_sdwa v14, v15, v16 dst_sel:DWORD dst_unused:UNUSED_PAD src0_sel:WORD_1 src1_sel:DWORD
	v_mov_b32_e32 v18, v15
	v_fma_f16 v14, v15, v9, v14
	v_mul_f16_sdwa v9, v18, v9 dst_sel:DWORD dst_unused:UNUSED_PAD src0_sel:WORD_1 src1_sel:DWORD
	v_fma_f16 v9, v18, v16, -v9
	buffer_load_dword v18, off, s[20:23], 0 offset:56 ; 4-byte Folded Reload
	v_cvt_f32_f16_e32 v14, v14
	v_cvt_f32_f16_e32 v9, v9
	v_cvt_f64_f32_e32 v[14:15], v14
	v_mul_f64 v[14:15], v[14:15], s[2:3]
	v_and_or_b32 v3, v15, s6, v14
	v_cmp_ne_u32_e32 vcc, 0, v3
	v_cndmask_b32_e64 v3, 0, 1, vcc
	v_lshrrev_b32_e32 v5, 8, v15
	v_bfe_u32 v7, v15, 20, 11
	v_and_or_b32 v3, v5, s7, v3
	v_sub_u32_e32 v10, 0x3f1, v7
	v_or_b32_e32 v5, 0x1000, v3
	v_med3_i32 v10, v10, 0, 13
	v_lshrrev_b32_e32 v14, v10, v5
	v_lshlrev_b32_e32 v10, v10, v14
	v_cmp_ne_u32_e32 vcc, v10, v5
	v_cndmask_b32_e64 v5, 0, 1, vcc
	v_add_u32_e32 v7, 0xfffffc10, v7
	v_or_b32_e32 v5, v14, v5
	v_lshl_or_b32 v10, v7, 12, v3
	v_cmp_gt_i32_e32 vcc, 1, v7
	v_cndmask_b32_e32 v5, v10, v5, vcc
	v_and_b32_e32 v10, 7, v5
	v_cmp_lt_i32_e32 vcc, 5, v10
	v_cmp_eq_u32_e64 s[0:1], 3, v10
	v_cvt_f64_f32_e32 v[9:10], v9
	v_lshrrev_b32_e32 v5, 2, v5
	s_or_b64 vcc, s[0:1], vcc
	v_addc_co_u32_e32 v5, vcc, 0, v5, vcc
	v_mul_f64 v[16:17], v[9:10], s[2:3]
	v_cmp_gt_i32_e32 vcc, 31, v7
	v_cndmask_b32_e32 v5, v11, v5, vcc
	v_cmp_ne_u32_e32 vcc, 0, v3
	v_cndmask_b32_e64 v3, 0, 1, vcc
	v_lshl_or_b32 v3, v3, 9, v11
	v_cmp_eq_u32_e32 vcc, s10, v7
	v_cndmask_b32_e32 v3, v5, v3, vcc
	v_lshrrev_b32_e32 v5, 16, v15
	v_and_or_b32 v3, v5, s11, v3
	v_and_or_b32 v5, v17, s6, v16
	v_cmp_ne_u32_e32 vcc, 0, v5
	v_cndmask_b32_e64 v5, 0, 1, vcc
	v_lshrrev_b32_e32 v7, 8, v17
	v_bfe_u32 v9, v17, 20, 11
	v_and_or_b32 v5, v7, s7, v5
	v_sub_u32_e32 v10, 0x3f1, v9
	v_or_b32_e32 v7, 0x1000, v5
	v_med3_i32 v10, v10, 0, 13
	v_lshrrev_b32_e32 v14, v10, v7
	v_lshlrev_b32_e32 v10, v10, v14
	v_cmp_ne_u32_e32 vcc, v10, v7
	v_cndmask_b32_e64 v7, 0, 1, vcc
	v_or_b32_e32 v7, v14, v7
	v_add_u32_e32 v14, 0xfffffc10, v9
	v_lshl_or_b32 v9, v14, 12, v5
	v_cmp_gt_i32_e32 vcc, 1, v14
	v_cndmask_b32_e32 v7, v9, v7, vcc
	v_and_b32_e32 v9, 7, v7
	v_cmp_lt_i32_e32 vcc, 5, v9
	v_cmp_eq_u32_e64 s[0:1], 3, v9
	ds_read2_b32 v[9:10], v183 offset0:206 offset1:255
	v_lshrrev_b32_e32 v7, 2, v7
	s_or_b64 vcc, s[0:1], vcc
	v_addc_co_u32_e32 v7, vcc, 0, v7, vcc
	s_waitcnt lgkmcnt(0)
	v_lshrrev_b32_e32 v16, 16, v9
	s_waitcnt vmcnt(0)
	v_mul_f16_sdwa v15, v18, v16 dst_sel:DWORD dst_unused:UNUSED_PAD src0_sel:WORD_1 src1_sel:DWORD
	v_fma_f16 v15, v18, v9, v15
	v_cvt_f32_f16_e32 v15, v15
	v_cmp_gt_i32_e32 vcc, 31, v14
	v_cndmask_b32_e32 v7, v11, v7, vcc
	v_cmp_ne_u32_e32 vcc, 0, v5
	v_cndmask_b32_e64 v5, 0, 1, vcc
	v_cmp_eq_u32_e32 vcc, s10, v14
	v_cvt_f64_f32_e32 v[14:15], v15
	v_lshl_or_b32 v5, v5, 9, v11
	v_cndmask_b32_e32 v5, v7, v5, vcc
	v_lshrrev_b32_e32 v7, 16, v17
	v_mul_f64 v[14:15], v[14:15], s[2:3]
	v_and_or_b32 v5, v7, s11, v5
	v_and_b32_e32 v3, 0xffff, v3
	v_lshl_or_b32 v3, v5, 16, v3
	v_mov_b32_e32 v5, s4
	v_add_co_u32_e32 v12, vcc, s5, v12
	v_addc_co_u32_e32 v13, vcc, v13, v5, vcc
	global_store_dword v[12:13], v3, off
	v_and_or_b32 v3, v15, s6, v14
	v_cmp_ne_u32_e32 vcc, 0, v3
	v_cndmask_b32_e64 v3, 0, 1, vcc
	v_lshrrev_b32_e32 v5, 8, v15
	v_bfe_u32 v7, v15, 20, 11
	v_and_or_b32 v3, v5, s7, v3
	v_sub_u32_e32 v14, 0x3f1, v7
	v_mul_f16_sdwa v9, v18, v9 dst_sel:DWORD dst_unused:UNUSED_PAD src0_sel:WORD_1 src1_sel:DWORD
	v_or_b32_e32 v5, 0x1000, v3
	v_med3_i32 v14, v14, 0, 13
	v_fma_f16 v9, v18, v16, -v9
	v_lshrrev_b32_e32 v17, v14, v5
	v_cvt_f32_f16_e32 v9, v9
	v_lshlrev_b32_e32 v14, v14, v17
	v_cmp_ne_u32_e32 vcc, v14, v5
	v_cndmask_b32_e64 v5, 0, 1, vcc
	v_or_b32_e32 v5, v17, v5
	v_add_u32_e32 v7, 0xfffffc10, v7
	v_cvt_f64_f32_e32 v[16:17], v9
	v_lshl_or_b32 v14, v7, 12, v3
	v_cmp_gt_i32_e32 vcc, 1, v7
	v_cndmask_b32_e32 v5, v14, v5, vcc
	v_and_b32_e32 v14, 7, v5
	v_cmp_lt_i32_e32 vcc, 5, v14
	v_cmp_eq_u32_e64 s[0:1], 3, v14
	v_mul_f64 v[16:17], v[16:17], s[2:3]
	v_lshrrev_b32_e32 v5, 2, v5
	s_or_b64 vcc, s[0:1], vcc
	v_addc_co_u32_e32 v5, vcc, 0, v5, vcc
	v_cmp_gt_i32_e32 vcc, 31, v7
	v_cndmask_b32_e32 v5, v11, v5, vcc
	v_cmp_ne_u32_e32 vcc, 0, v3
	v_cndmask_b32_e64 v3, 0, 1, vcc
	v_lshl_or_b32 v3, v3, 9, v11
	v_cmp_eq_u32_e32 vcc, s10, v7
	v_cndmask_b32_e32 v3, v5, v3, vcc
	v_lshrrev_b32_e32 v5, 16, v15
	v_and_or_b32 v3, v5, s11, v3
	v_and_or_b32 v5, v17, s6, v16
	v_cmp_ne_u32_e32 vcc, 0, v5
	v_cndmask_b32_e64 v5, 0, 1, vcc
	v_lshrrev_b32_e32 v7, 8, v17
	v_bfe_u32 v9, v17, 20, 11
	v_and_or_b32 v5, v7, s7, v5
	v_sub_u32_e32 v14, 0x3f1, v9
	v_or_b32_e32 v7, 0x1000, v5
	v_med3_i32 v14, v14, 0, 13
	v_lshrrev_b32_e32 v15, v14, v7
	v_lshlrev_b32_e32 v14, v14, v15
	v_cmp_ne_u32_e32 vcc, v14, v7
	v_cndmask_b32_e64 v7, 0, 1, vcc
	v_or_b32_e32 v7, v15, v7
	buffer_load_dword v15, off, s[20:23], 0 offset:52 ; 4-byte Folded Reload
	v_add_u32_e32 v9, 0xfffffc10, v9
	v_lshl_or_b32 v14, v9, 12, v5
	v_cmp_gt_i32_e32 vcc, 1, v9
	v_cndmask_b32_e32 v7, v14, v7, vcc
	v_and_b32_e32 v14, 7, v7
	v_lshrrev_b32_e32 v16, 16, v4
	v_cmp_lt_i32_e32 vcc, 5, v14
	v_cmp_eq_u32_e64 s[0:1], 3, v14
	v_lshrrev_b32_e32 v7, 2, v7
	s_or_b64 vcc, s[0:1], vcc
	v_addc_co_u32_e32 v7, vcc, 0, v7, vcc
	v_cmp_gt_i32_e32 vcc, 31, v9
	v_cndmask_b32_e32 v7, v11, v7, vcc
	v_cmp_ne_u32_e32 vcc, 0, v5
	v_cndmask_b32_e64 v5, 0, 1, vcc
	v_lshl_or_b32 v5, v5, 9, v11
	v_cmp_eq_u32_e32 vcc, s10, v9
	v_cndmask_b32_e32 v5, v7, v5, vcc
	v_lshrrev_b32_e32 v7, 16, v17
	v_and_or_b32 v5, v7, s11, v5
	v_and_b32_e32 v3, 0xffff, v3
	v_lshl_or_b32 v3, v5, 16, v3
	v_mov_b32_e32 v5, s4
	v_add_co_u32_e32 v12, vcc, s5, v12
	v_addc_co_u32_e32 v13, vcc, v13, v5, vcc
	global_store_dword v[12:13], v3, off
	s_waitcnt vmcnt(1)
	v_mul_f16_sdwa v14, v15, v16 dst_sel:DWORD dst_unused:UNUSED_PAD src0_sel:WORD_1 src1_sel:DWORD
	v_mov_b32_e32 v18, v15
	v_fma_f16 v14, v15, v4, v14
	v_mul_f16_sdwa v4, v18, v4 dst_sel:DWORD dst_unused:UNUSED_PAD src0_sel:WORD_1 src1_sel:DWORD
	v_fma_f16 v4, v18, v16, -v4
	buffer_load_dword v18, off, s[20:23], 0 offset:48 ; 4-byte Folded Reload
	v_cvt_f32_f16_e32 v14, v14
	v_cvt_f32_f16_e32 v4, v4
	v_cvt_f64_f32_e32 v[14:15], v14
	v_mul_f64 v[14:15], v[14:15], s[2:3]
	v_and_or_b32 v3, v15, s6, v14
	v_cmp_ne_u32_e32 vcc, 0, v3
	v_cndmask_b32_e64 v3, 0, 1, vcc
	v_lshrrev_b32_e32 v5, 8, v15
	v_and_or_b32 v7, v5, s7, v3
	v_bfe_u32 v5, v15, 20, 11
	v_sub_u32_e32 v9, 0x3f1, v5
	v_or_b32_e32 v3, 0x1000, v7
	v_med3_i32 v9, v9, 0, 13
	v_lshrrev_b32_e32 v14, v9, v3
	v_lshlrev_b32_e32 v9, v9, v14
	v_cmp_ne_u32_e32 vcc, v9, v3
	v_cndmask_b32_e64 v3, 0, 1, vcc
	v_add_u32_e32 v9, 0xfffffc10, v5
	v_or_b32_e32 v3, v14, v3
	v_lshl_or_b32 v5, v9, 12, v7
	v_cmp_gt_i32_e32 vcc, 1, v9
	v_cndmask_b32_e32 v3, v5, v3, vcc
	v_and_b32_e32 v5, 7, v3
	v_cmp_lt_i32_e32 vcc, 5, v5
	v_cmp_eq_u32_e64 s[0:1], 3, v5
	v_lshrrev_b32_e32 v5, 2, v3
	v_cvt_f64_f32_e32 v[3:4], v4
	s_or_b64 vcc, s[0:1], vcc
	v_addc_co_u32_e32 v5, vcc, 0, v5, vcc
	v_cmp_gt_i32_e32 vcc, 31, v9
	v_cndmask_b32_e32 v14, v11, v5, vcc
	v_mul_f64 v[4:5], v[3:4], s[2:3]
	v_cmp_ne_u32_e32 vcc, 0, v7
	v_cndmask_b32_e64 v3, 0, 1, vcc
	v_lshl_or_b32 v3, v3, 9, v11
	v_cmp_eq_u32_e32 vcc, s10, v9
	v_cndmask_b32_e32 v3, v14, v3, vcc
	v_lshrrev_b32_e32 v7, 16, v15
	v_and_or_b32 v7, v7, s11, v3
	v_and_or_b32 v3, v5, s6, v4
	v_cmp_ne_u32_e32 vcc, 0, v3
	v_cndmask_b32_e64 v3, 0, 1, vcc
	v_lshrrev_b32_e32 v4, 8, v5
	v_and_or_b32 v9, v4, s7, v3
	v_bfe_u32 v4, v5, 20, 11
	v_sub_u32_e32 v14, 0x3f1, v4
	v_or_b32_e32 v3, 0x1000, v9
	v_med3_i32 v14, v14, 0, 13
	v_lshrrev_b32_e32 v15, v14, v3
	v_lshlrev_b32_e32 v14, v14, v15
	v_cmp_ne_u32_e32 vcc, v14, v3
	v_cndmask_b32_e64 v3, 0, 1, vcc
	v_add_u32_e32 v14, 0xfffffc10, v4
	v_or_b32_e32 v3, v15, v3
	v_lshl_or_b32 v4, v14, 12, v9
	v_cmp_gt_i32_e32 vcc, 1, v14
	v_cndmask_b32_e32 v3, v4, v3, vcc
	v_and_b32_e32 v4, 7, v3
	v_cmp_lt_i32_e32 vcc, 5, v4
	v_cmp_eq_u32_e64 s[0:1], 3, v4
	v_lshrrev_b32_e32 v3, 2, v3
	s_or_b64 vcc, s[0:1], vcc
	v_addc_co_u32_e32 v15, vcc, 0, v3, vcc
	ds_read2_b32 v[3:4], v185 offset0:76 offset1:125
	v_cmp_gt_i32_e32 vcc, 31, v14
	v_cndmask_b32_e32 v15, v11, v15, vcc
	v_cmp_ne_u32_e32 vcc, 0, v9
	v_cndmask_b32_e64 v9, 0, 1, vcc
	s_waitcnt lgkmcnt(0)
	v_lshrrev_b32_e32 v16, 16, v3
	s_waitcnt vmcnt(0)
	v_mul_f16_sdwa v17, v18, v16 dst_sel:DWORD dst_unused:UNUSED_PAD src0_sel:WORD_1 src1_sel:DWORD
	v_fma_f16 v17, v18, v3, v17
	v_cvt_f32_f16_e32 v17, v17
	v_lshl_or_b32 v9, v9, 9, v11
	v_cmp_eq_u32_e32 vcc, s10, v14
	v_cndmask_b32_e32 v9, v15, v9, vcc
	v_cvt_f64_f32_e32 v[14:15], v17
	v_lshrrev_b32_e32 v5, 16, v5
	v_and_or_b32 v5, v5, s11, v9
	v_and_b32_e32 v7, 0xffff, v7
	v_mul_f64 v[14:15], v[14:15], s[2:3]
	v_lshl_or_b32 v5, v5, 16, v7
	v_mov_b32_e32 v7, s9
	v_add_co_u32_e32 v12, vcc, s8, v12
	v_addc_co_u32_e32 v13, vcc, v13, v7, vcc
	global_store_dword v[12:13], v5, off
	v_and_or_b32 v5, v15, s6, v14
	v_cmp_ne_u32_e32 vcc, 0, v5
	v_cndmask_b32_e64 v5, 0, 1, vcc
	v_lshrrev_b32_e32 v7, 8, v15
	v_bfe_u32 v9, v15, 20, 11
	v_and_or_b32 v5, v7, s7, v5
	v_sub_u32_e32 v14, 0x3f1, v9
	v_mul_f16_sdwa v3, v18, v3 dst_sel:DWORD dst_unused:UNUSED_PAD src0_sel:WORD_1 src1_sel:DWORD
	v_or_b32_e32 v7, 0x1000, v5
	v_med3_i32 v14, v14, 0, 13
	v_fma_f16 v3, v18, v16, -v3
	v_lshrrev_b32_e32 v17, v14, v7
	v_cvt_f32_f16_e32 v3, v3
	v_lshlrev_b32_e32 v14, v14, v17
	v_cmp_ne_u32_e32 vcc, v14, v7
	v_cndmask_b32_e64 v7, 0, 1, vcc
	v_or_b32_e32 v7, v17, v7
	v_add_u32_e32 v9, 0xfffffc10, v9
	v_cvt_f64_f32_e32 v[16:17], v3
	v_lshl_or_b32 v14, v9, 12, v5
	v_cmp_gt_i32_e32 vcc, 1, v9
	v_cndmask_b32_e32 v7, v14, v7, vcc
	v_and_b32_e32 v14, 7, v7
	v_cmp_lt_i32_e32 vcc, 5, v14
	v_cmp_eq_u32_e64 s[0:1], 3, v14
	v_mul_f64 v[16:17], v[16:17], s[2:3]
	v_lshrrev_b32_e32 v7, 2, v7
	s_or_b64 vcc, s[0:1], vcc
	v_addc_co_u32_e32 v3, vcc, 0, v7, vcc
	v_cmp_gt_i32_e32 vcc, 31, v9
	v_cndmask_b32_e32 v3, v11, v3, vcc
	v_cmp_ne_u32_e32 vcc, 0, v5
	v_cndmask_b32_e64 v5, 0, 1, vcc
	v_lshl_or_b32 v5, v5, 9, v11
	v_cmp_eq_u32_e32 vcc, s10, v9
	v_cndmask_b32_e32 v3, v3, v5, vcc
	v_lshrrev_b32_e32 v5, 16, v15
	v_and_or_b32 v3, v5, s11, v3
	v_and_or_b32 v5, v17, s6, v16
	v_cmp_ne_u32_e32 vcc, 0, v5
	v_cndmask_b32_e64 v5, 0, 1, vcc
	v_lshrrev_b32_e32 v7, 8, v17
	v_bfe_u32 v9, v17, 20, 11
	v_and_or_b32 v5, v7, s7, v5
	v_sub_u32_e32 v14, 0x3f1, v9
	v_or_b32_e32 v7, 0x1000, v5
	v_med3_i32 v14, v14, 0, 13
	v_lshrrev_b32_e32 v15, v14, v7
	v_lshlrev_b32_e32 v14, v14, v15
	v_cmp_ne_u32_e32 vcc, v14, v7
	v_cndmask_b32_e64 v7, 0, 1, vcc
	v_or_b32_e32 v7, v15, v7
	buffer_load_dword v15, off, s[20:23], 0 offset:44 ; 4-byte Folded Reload
	v_add_u32_e32 v9, 0xfffffc10, v9
	v_lshl_or_b32 v14, v9, 12, v5
	v_cmp_gt_i32_e32 vcc, 1, v9
	v_cndmask_b32_e32 v7, v14, v7, vcc
	v_and_b32_e32 v14, 7, v7
	v_lshrrev_b32_e32 v16, 16, v6
	v_cmp_lt_i32_e32 vcc, 5, v14
	v_cmp_eq_u32_e64 s[0:1], 3, v14
	v_lshrrev_b32_e32 v7, 2, v7
	s_or_b64 vcc, s[0:1], vcc
	v_addc_co_u32_e32 v7, vcc, 0, v7, vcc
	v_cmp_gt_i32_e32 vcc, 31, v9
	v_cndmask_b32_e32 v7, v11, v7, vcc
	v_cmp_ne_u32_e32 vcc, 0, v5
	v_cndmask_b32_e64 v5, 0, 1, vcc
	v_lshl_or_b32 v5, v5, 9, v11
	v_cmp_eq_u32_e32 vcc, s10, v9
	v_cndmask_b32_e32 v5, v7, v5, vcc
	v_lshrrev_b32_e32 v7, 16, v17
	v_and_or_b32 v5, v7, s11, v5
	v_and_b32_e32 v3, 0xffff, v3
	v_lshl_or_b32 v3, v5, 16, v3
	v_mov_b32_e32 v5, s4
	v_add_co_u32_e32 v12, vcc, s5, v12
	v_addc_co_u32_e32 v13, vcc, v13, v5, vcc
	global_store_dword v[12:13], v3, off
	s_waitcnt vmcnt(1)
	v_mul_f16_sdwa v14, v15, v16 dst_sel:DWORD dst_unused:UNUSED_PAD src0_sel:WORD_1 src1_sel:DWORD
	v_mov_b32_e32 v18, v15
	v_fma_f16 v14, v15, v6, v14
	v_mul_f16_sdwa v6, v18, v6 dst_sel:DWORD dst_unused:UNUSED_PAD src0_sel:WORD_1 src1_sel:DWORD
	v_fma_f16 v6, v18, v16, -v6
	buffer_load_dword v18, off, s[20:23], 0 offset:40 ; 4-byte Folded Reload
	v_cvt_f32_f16_e32 v14, v14
	v_cvt_f32_f16_e32 v6, v6
	v_cvt_f64_f32_e32 v[14:15], v14
	v_mul_f64 v[14:15], v[14:15], s[2:3]
	v_and_or_b32 v3, v15, s6, v14
	v_cmp_ne_u32_e32 vcc, 0, v3
	v_cndmask_b32_e64 v3, 0, 1, vcc
	v_lshrrev_b32_e32 v5, 8, v15
	v_bfe_u32 v7, v15, 20, 11
	v_and_or_b32 v3, v5, s7, v3
	v_sub_u32_e32 v9, 0x3f1, v7
	v_or_b32_e32 v5, 0x1000, v3
	v_med3_i32 v9, v9, 0, 13
	v_lshrrev_b32_e32 v14, v9, v5
	v_lshlrev_b32_e32 v9, v9, v14
	v_cmp_ne_u32_e32 vcc, v9, v5
	v_cndmask_b32_e64 v5, 0, 1, vcc
	v_add_u32_e32 v9, 0xfffffc10, v7
	v_or_b32_e32 v5, v14, v5
	v_lshl_or_b32 v7, v9, 12, v3
	v_cmp_gt_i32_e32 vcc, 1, v9
	v_cndmask_b32_e32 v5, v7, v5, vcc
	v_and_b32_e32 v7, 7, v5
	v_cmp_lt_i32_e32 vcc, 5, v7
	v_cmp_eq_u32_e64 s[0:1], 3, v7
	v_lshrrev_b32_e32 v7, 2, v5
	v_cvt_f64_f32_e32 v[5:6], v6
	s_or_b64 vcc, s[0:1], vcc
	v_addc_co_u32_e32 v7, vcc, 0, v7, vcc
	v_cmp_gt_i32_e32 vcc, 31, v9
	v_cndmask_b32_e32 v14, v11, v7, vcc
	v_mul_f64 v[6:7], v[5:6], s[2:3]
	v_cmp_ne_u32_e32 vcc, 0, v3
	v_cndmask_b32_e64 v3, 0, 1, vcc
	v_lshl_or_b32 v3, v3, 9, v11
	v_cmp_eq_u32_e32 vcc, s10, v9
	v_cndmask_b32_e32 v3, v14, v3, vcc
	v_lshrrev_b32_e32 v5, 16, v15
	v_and_or_b32 v3, v5, s11, v3
	v_and_or_b32 v5, v7, s6, v6
	v_cmp_ne_u32_e32 vcc, 0, v5
	v_cndmask_b32_e64 v5, 0, 1, vcc
	v_lshrrev_b32_e32 v6, 8, v7
	v_and_or_b32 v9, v6, s7, v5
	v_bfe_u32 v6, v7, 20, 11
	v_sub_u32_e32 v14, 0x3f1, v6
	v_or_b32_e32 v5, 0x1000, v9
	v_med3_i32 v14, v14, 0, 13
	v_lshrrev_b32_e32 v15, v14, v5
	v_lshlrev_b32_e32 v14, v14, v15
	v_cmp_ne_u32_e32 vcc, v14, v5
	v_cndmask_b32_e64 v5, 0, 1, vcc
	v_add_u32_e32 v14, 0xfffffc10, v6
	v_or_b32_e32 v5, v15, v5
	v_lshl_or_b32 v6, v14, 12, v9
	v_cmp_gt_i32_e32 vcc, 1, v14
	v_cndmask_b32_e32 v5, v6, v5, vcc
	v_and_b32_e32 v6, 7, v5
	v_cmp_lt_i32_e32 vcc, 5, v6
	v_cmp_eq_u32_e64 s[0:1], 3, v6
	v_lshrrev_b32_e32 v5, 2, v5
	s_or_b64 vcc, s[0:1], vcc
	v_addc_co_u32_e32 v15, vcc, 0, v5, vcc
	ds_read2_b32 v[5:6], v220 offset0:122 offset1:171
	v_cmp_gt_i32_e32 vcc, 31, v14
	v_cndmask_b32_e32 v15, v11, v15, vcc
	v_cmp_ne_u32_e32 vcc, 0, v9
	v_cndmask_b32_e64 v9, 0, 1, vcc
	s_waitcnt lgkmcnt(0)
	v_lshrrev_b32_e32 v16, 16, v5
	s_waitcnt vmcnt(0)
	v_mul_f16_sdwa v17, v18, v16 dst_sel:DWORD dst_unused:UNUSED_PAD src0_sel:WORD_1 src1_sel:DWORD
	v_fma_f16 v17, v18, v5, v17
	v_cvt_f32_f16_e32 v17, v17
	v_lshl_or_b32 v9, v9, 9, v11
	v_cmp_eq_u32_e32 vcc, s10, v14
	v_cndmask_b32_e32 v9, v15, v9, vcc
	v_cvt_f64_f32_e32 v[14:15], v17
	v_lshrrev_b32_e32 v7, 16, v7
	v_and_or_b32 v7, v7, s11, v9
	v_and_b32_e32 v3, 0xffff, v3
	v_mul_f64 v[14:15], v[14:15], s[2:3]
	v_lshl_or_b32 v3, v7, 16, v3
	v_mov_b32_e32 v7, s4
	v_add_co_u32_e32 v12, vcc, s5, v12
	v_addc_co_u32_e32 v13, vcc, v13, v7, vcc
	global_store_dword v[12:13], v3, off
	v_and_or_b32 v3, v15, s6, v14
	v_cmp_ne_u32_e32 vcc, 0, v3
	v_cndmask_b32_e64 v3, 0, 1, vcc
	v_lshrrev_b32_e32 v7, 8, v15
	v_bfe_u32 v9, v15, 20, 11
	v_and_or_b32 v3, v7, s7, v3
	v_sub_u32_e32 v14, 0x3f1, v9
	v_mul_f16_sdwa v5, v18, v5 dst_sel:DWORD dst_unused:UNUSED_PAD src0_sel:WORD_1 src1_sel:DWORD
	v_or_b32_e32 v7, 0x1000, v3
	v_med3_i32 v14, v14, 0, 13
	v_fma_f16 v5, v18, v16, -v5
	v_lshrrev_b32_e32 v17, v14, v7
	v_cvt_f32_f16_e32 v5, v5
	v_lshlrev_b32_e32 v14, v14, v17
	v_cmp_ne_u32_e32 vcc, v14, v7
	v_cndmask_b32_e64 v7, 0, 1, vcc
	v_or_b32_e32 v7, v17, v7
	v_add_u32_e32 v9, 0xfffffc10, v9
	v_cvt_f64_f32_e32 v[16:17], v5
	v_lshl_or_b32 v14, v9, 12, v3
	v_cmp_gt_i32_e32 vcc, 1, v9
	v_cndmask_b32_e32 v7, v14, v7, vcc
	v_and_b32_e32 v14, 7, v7
	v_cmp_lt_i32_e32 vcc, 5, v14
	v_cmp_eq_u32_e64 s[0:1], 3, v14
	v_mul_f64 v[16:17], v[16:17], s[2:3]
	v_lshrrev_b32_e32 v7, 2, v7
	s_or_b64 vcc, s[0:1], vcc
	v_addc_co_u32_e32 v5, vcc, 0, v7, vcc
	v_cmp_gt_i32_e32 vcc, 31, v9
	v_cndmask_b32_e32 v5, v11, v5, vcc
	v_cmp_ne_u32_e32 vcc, 0, v3
	v_cndmask_b32_e64 v3, 0, 1, vcc
	v_lshl_or_b32 v3, v3, 9, v11
	v_cmp_eq_u32_e32 vcc, s10, v9
	v_cndmask_b32_e32 v3, v5, v3, vcc
	v_lshrrev_b32_e32 v5, 16, v15
	v_and_or_b32 v3, v5, s11, v3
	v_and_or_b32 v5, v17, s6, v16
	v_cmp_ne_u32_e32 vcc, 0, v5
	v_cndmask_b32_e64 v5, 0, 1, vcc
	v_lshrrev_b32_e32 v7, 8, v17
	v_bfe_u32 v9, v17, 20, 11
	v_and_or_b32 v5, v7, s7, v5
	v_sub_u32_e32 v14, 0x3f1, v9
	v_or_b32_e32 v7, 0x1000, v5
	v_med3_i32 v14, v14, 0, 13
	v_lshrrev_b32_e32 v15, v14, v7
	v_lshlrev_b32_e32 v14, v14, v15
	v_cmp_ne_u32_e32 vcc, v14, v7
	v_cndmask_b32_e64 v7, 0, 1, vcc
	v_or_b32_e32 v7, v15, v7
	buffer_load_dword v15, off, s[20:23], 0 offset:36 ; 4-byte Folded Reload
	v_add_u32_e32 v9, 0xfffffc10, v9
	v_lshl_or_b32 v14, v9, 12, v5
	v_cmp_gt_i32_e32 vcc, 1, v9
	v_cndmask_b32_e32 v7, v14, v7, vcc
	v_and_b32_e32 v14, 7, v7
	v_lshrrev_b32_e32 v16, 16, v8
	v_cmp_lt_i32_e32 vcc, 5, v14
	v_cmp_eq_u32_e64 s[0:1], 3, v14
	v_lshrrev_b32_e32 v7, 2, v7
	s_or_b64 vcc, s[0:1], vcc
	v_addc_co_u32_e32 v7, vcc, 0, v7, vcc
	v_cmp_gt_i32_e32 vcc, 31, v9
	v_cndmask_b32_e32 v7, v11, v7, vcc
	v_cmp_ne_u32_e32 vcc, 0, v5
	v_cndmask_b32_e64 v5, 0, 1, vcc
	v_lshl_or_b32 v5, v5, 9, v11
	v_cmp_eq_u32_e32 vcc, s10, v9
	v_cndmask_b32_e32 v5, v7, v5, vcc
	v_lshrrev_b32_e32 v7, 16, v17
	v_and_or_b32 v5, v7, s11, v5
	v_and_b32_e32 v3, 0xffff, v3
	v_lshl_or_b32 v3, v5, 16, v3
	v_mov_b32_e32 v5, s4
	v_add_co_u32_e32 v12, vcc, s5, v12
	v_addc_co_u32_e32 v13, vcc, v13, v5, vcc
	global_store_dword v[12:13], v3, off
	s_waitcnt vmcnt(1)
	v_mul_f16_sdwa v14, v15, v16 dst_sel:DWORD dst_unused:UNUSED_PAD src0_sel:WORD_1 src1_sel:DWORD
	v_mov_b32_e32 v18, v15
	v_fma_f16 v14, v15, v8, v14
	v_mul_f16_sdwa v8, v18, v8 dst_sel:DWORD dst_unused:UNUSED_PAD src0_sel:WORD_1 src1_sel:DWORD
	v_fma_f16 v8, v18, v16, -v8
	buffer_load_dword v18, off, s[20:23], 0 offset:32 ; 4-byte Folded Reload
	v_cvt_f32_f16_e32 v14, v14
	v_cvt_f32_f16_e32 v8, v8
	v_cvt_f64_f32_e32 v[14:15], v14
	v_mul_f64 v[14:15], v[14:15], s[2:3]
	v_and_or_b32 v3, v15, s6, v14
	v_cmp_ne_u32_e32 vcc, 0, v3
	v_cndmask_b32_e64 v3, 0, 1, vcc
	v_lshrrev_b32_e32 v5, 8, v15
	v_bfe_u32 v7, v15, 20, 11
	v_and_or_b32 v3, v5, s7, v3
	v_sub_u32_e32 v9, 0x3f1, v7
	v_or_b32_e32 v5, 0x1000, v3
	v_med3_i32 v9, v9, 0, 13
	v_lshrrev_b32_e32 v14, v9, v5
	v_lshlrev_b32_e32 v9, v9, v14
	v_cmp_ne_u32_e32 vcc, v9, v5
	v_cndmask_b32_e64 v5, 0, 1, vcc
	v_or_b32_e32 v5, v14, v5
	v_add_u32_e32 v14, 0xfffffc10, v7
	v_lshl_or_b32 v7, v14, 12, v3
	v_cmp_gt_i32_e32 vcc, 1, v14
	v_cndmask_b32_e32 v5, v7, v5, vcc
	v_and_b32_e32 v7, 7, v5
	v_cmp_lt_i32_e32 vcc, 5, v7
	v_cmp_eq_u32_e64 s[0:1], 3, v7
	v_cvt_f64_f32_e32 v[7:8], v8
	v_lshrrev_b32_e32 v5, 2, v5
	s_or_b64 vcc, s[0:1], vcc
	v_addc_co_u32_e32 v5, vcc, 0, v5, vcc
	v_mul_f64 v[8:9], v[7:8], s[2:3]
	v_cmp_gt_i32_e32 vcc, 31, v14
	v_cndmask_b32_e32 v5, v11, v5, vcc
	v_cmp_ne_u32_e32 vcc, 0, v3
	v_cndmask_b32_e64 v3, 0, 1, vcc
	v_lshl_or_b32 v3, v3, 9, v11
	v_cmp_eq_u32_e32 vcc, s10, v14
	v_cndmask_b32_e32 v3, v5, v3, vcc
	v_lshrrev_b32_e32 v5, 16, v15
	v_and_or_b32 v3, v5, s11, v3
	v_and_or_b32 v5, v9, s6, v8
	v_cmp_ne_u32_e32 vcc, 0, v5
	v_cndmask_b32_e64 v5, 0, 1, vcc
	v_lshrrev_b32_e32 v7, 8, v9
	v_bfe_u32 v8, v9, 20, 11
	v_and_or_b32 v5, v7, s7, v5
	v_sub_u32_e32 v14, 0x3f1, v8
	v_or_b32_e32 v7, 0x1000, v5
	v_med3_i32 v14, v14, 0, 13
	v_lshrrev_b32_e32 v15, v14, v7
	v_lshlrev_b32_e32 v14, v14, v15
	v_cmp_ne_u32_e32 vcc, v14, v7
	v_cndmask_b32_e64 v7, 0, 1, vcc
	v_add_u32_e32 v14, 0xfffffc10, v8
	v_or_b32_e32 v7, v15, v7
	v_lshl_or_b32 v8, v14, 12, v5
	v_cmp_gt_i32_e32 vcc, 1, v14
	v_cndmask_b32_e32 v7, v8, v7, vcc
	v_and_b32_e32 v8, 7, v7
	v_cmp_lt_i32_e32 vcc, 5, v8
	v_cmp_eq_u32_e64 s[0:1], 3, v8
	v_lshrrev_b32_e32 v7, 2, v7
	s_or_b64 vcc, s[0:1], vcc
	v_addc_co_u32_e32 v15, vcc, 0, v7, vcc
	ds_read2_b32 v[7:8], v182 offset0:168 offset1:217
	v_cmp_gt_i32_e32 vcc, 31, v14
	v_cndmask_b32_e32 v15, v11, v15, vcc
	v_cmp_ne_u32_e32 vcc, 0, v5
	v_cndmask_b32_e64 v5, 0, 1, vcc
	s_waitcnt lgkmcnt(0)
	v_lshrrev_b32_e32 v16, 16, v7
	s_waitcnt vmcnt(0)
	v_mul_f16_sdwa v17, v18, v16 dst_sel:DWORD dst_unused:UNUSED_PAD src0_sel:WORD_1 src1_sel:DWORD
	v_fma_f16 v17, v18, v7, v17
	v_cvt_f32_f16_e32 v17, v17
	v_lshl_or_b32 v5, v5, 9, v11
	v_cmp_eq_u32_e32 vcc, s10, v14
	v_cndmask_b32_e32 v5, v15, v5, vcc
	v_cvt_f64_f32_e32 v[14:15], v17
	v_lshrrev_b32_e32 v9, 16, v9
	v_and_or_b32 v5, v9, s11, v5
	v_and_b32_e32 v3, 0xffff, v3
	v_mul_f64 v[14:15], v[14:15], s[2:3]
	v_lshl_or_b32 v3, v5, 16, v3
	v_mov_b32_e32 v5, s4
	v_add_co_u32_e32 v12, vcc, s5, v12
	v_addc_co_u32_e32 v13, vcc, v13, v5, vcc
	global_store_dword v[12:13], v3, off
	v_and_or_b32 v3, v15, s6, v14
	v_cmp_ne_u32_e32 vcc, 0, v3
	v_cndmask_b32_e64 v3, 0, 1, vcc
	v_lshrrev_b32_e32 v5, 8, v15
	v_bfe_u32 v9, v15, 20, 11
	v_and_or_b32 v3, v5, s7, v3
	v_sub_u32_e32 v14, 0x3f1, v9
	v_mul_f16_sdwa v7, v18, v7 dst_sel:DWORD dst_unused:UNUSED_PAD src0_sel:WORD_1 src1_sel:DWORD
	v_or_b32_e32 v5, 0x1000, v3
	v_med3_i32 v14, v14, 0, 13
	v_fma_f16 v7, v18, v16, -v7
	v_lshrrev_b32_e32 v17, v14, v5
	v_cvt_f32_f16_e32 v7, v7
	v_lshlrev_b32_e32 v14, v14, v17
	v_cmp_ne_u32_e32 vcc, v14, v5
	v_cndmask_b32_e64 v5, 0, 1, vcc
	v_or_b32_e32 v5, v17, v5
	v_add_u32_e32 v9, 0xfffffc10, v9
	v_cvt_f64_f32_e32 v[16:17], v7
	v_lshl_or_b32 v14, v9, 12, v3
	v_cmp_gt_i32_e32 vcc, 1, v9
	v_cndmask_b32_e32 v5, v14, v5, vcc
	v_and_b32_e32 v14, 7, v5
	v_cmp_lt_i32_e32 vcc, 5, v14
	v_cmp_eq_u32_e64 s[0:1], 3, v14
	v_mul_f64 v[16:17], v[16:17], s[2:3]
	v_lshrrev_b32_e32 v5, 2, v5
	s_or_b64 vcc, s[0:1], vcc
	v_addc_co_u32_e32 v5, vcc, 0, v5, vcc
	v_cmp_gt_i32_e32 vcc, 31, v9
	v_cndmask_b32_e32 v5, v11, v5, vcc
	v_cmp_ne_u32_e32 vcc, 0, v3
	v_cndmask_b32_e64 v3, 0, 1, vcc
	v_lshl_or_b32 v3, v3, 9, v11
	v_cmp_eq_u32_e32 vcc, s10, v9
	v_cndmask_b32_e32 v3, v5, v3, vcc
	v_lshrrev_b32_e32 v5, 16, v15
	v_and_or_b32 v3, v5, s11, v3
	v_and_or_b32 v5, v17, s6, v16
	v_cmp_ne_u32_e32 vcc, 0, v5
	v_cndmask_b32_e64 v5, 0, 1, vcc
	v_lshrrev_b32_e32 v7, 8, v17
	v_bfe_u32 v9, v17, 20, 11
	v_and_or_b32 v5, v7, s7, v5
	v_sub_u32_e32 v14, 0x3f1, v9
	v_or_b32_e32 v7, 0x1000, v5
	v_med3_i32 v14, v14, 0, 13
	v_lshrrev_b32_e32 v15, v14, v7
	v_lshlrev_b32_e32 v14, v14, v15
	v_cmp_ne_u32_e32 vcc, v14, v7
	v_cndmask_b32_e64 v7, 0, 1, vcc
	v_or_b32_e32 v7, v15, v7
	buffer_load_dword v15, off, s[20:23], 0 offset:28 ; 4-byte Folded Reload
	v_add_u32_e32 v9, 0xfffffc10, v9
	v_lshl_or_b32 v14, v9, 12, v5
	v_cmp_gt_i32_e32 vcc, 1, v9
	v_cndmask_b32_e32 v7, v14, v7, vcc
	v_and_b32_e32 v14, 7, v7
	v_lshrrev_b32_e32 v16, 16, v10
	v_cmp_lt_i32_e32 vcc, 5, v14
	v_cmp_eq_u32_e64 s[0:1], 3, v14
	v_lshrrev_b32_e32 v7, 2, v7
	s_or_b64 vcc, s[0:1], vcc
	v_addc_co_u32_e32 v7, vcc, 0, v7, vcc
	v_cmp_gt_i32_e32 vcc, 31, v9
	v_cndmask_b32_e32 v7, v11, v7, vcc
	v_cmp_ne_u32_e32 vcc, 0, v5
	v_cndmask_b32_e64 v5, 0, 1, vcc
	v_lshl_or_b32 v5, v5, 9, v11
	v_cmp_eq_u32_e32 vcc, s10, v9
	v_cndmask_b32_e32 v5, v7, v5, vcc
	v_lshrrev_b32_e32 v7, 16, v17
	v_and_or_b32 v5, v7, s11, v5
	v_and_b32_e32 v3, 0xffff, v3
	v_lshl_or_b32 v3, v5, 16, v3
	v_mov_b32_e32 v5, s4
	v_add_co_u32_e32 v12, vcc, s5, v12
	v_addc_co_u32_e32 v13, vcc, v13, v5, vcc
	global_store_dword v[12:13], v3, off
	s_waitcnt vmcnt(1)
	v_mul_f16_sdwa v14, v15, v16 dst_sel:DWORD dst_unused:UNUSED_PAD src0_sel:WORD_1 src1_sel:DWORD
	v_fma_f16 v14, v15, v10, v14
	v_cvt_f32_f16_e32 v14, v14
	v_mov_b32_e32 v18, v15
	v_mul_f16_sdwa v10, v18, v10 dst_sel:DWORD dst_unused:UNUSED_PAD src0_sel:WORD_1 src1_sel:DWORD
	v_fma_f16 v10, v18, v16, -v10
	v_cvt_f64_f32_e32 v[14:15], v14
	v_cvt_f32_f16_e32 v10, v10
	v_lshrrev_b32_e32 v16, 16, v0
	v_mul_f64 v[14:15], v[14:15], s[2:3]
	v_and_or_b32 v3, v15, s6, v14
	v_cmp_ne_u32_e32 vcc, 0, v3
	v_cndmask_b32_e64 v3, 0, 1, vcc
	v_lshrrev_b32_e32 v5, 8, v15
	v_bfe_u32 v7, v15, 20, 11
	v_and_or_b32 v3, v5, s7, v3
	v_sub_u32_e32 v9, 0x3f1, v7
	v_or_b32_e32 v5, 0x1000, v3
	v_med3_i32 v9, v9, 0, 13
	v_lshrrev_b32_e32 v14, v9, v5
	v_lshlrev_b32_e32 v9, v9, v14
	v_cmp_ne_u32_e32 vcc, v9, v5
	v_cndmask_b32_e64 v5, 0, 1, vcc
	v_add_u32_e32 v7, 0xfffffc10, v7
	v_or_b32_e32 v5, v14, v5
	v_lshl_or_b32 v9, v7, 12, v3
	v_cmp_gt_i32_e32 vcc, 1, v7
	v_cndmask_b32_e32 v5, v9, v5, vcc
	v_and_b32_e32 v9, 7, v5
	v_cmp_lt_i32_e32 vcc, 5, v9
	v_cmp_eq_u32_e64 s[0:1], 3, v9
	v_cvt_f64_f32_e32 v[9:10], v10
	v_lshrrev_b32_e32 v5, 2, v5
	s_or_b64 vcc, s[0:1], vcc
	v_addc_co_u32_e32 v5, vcc, 0, v5, vcc
	v_mul_f64 v[9:10], v[9:10], s[2:3]
	v_cmp_gt_i32_e32 vcc, 31, v7
	v_cndmask_b32_e32 v5, v11, v5, vcc
	v_cmp_ne_u32_e32 vcc, 0, v3
	v_cndmask_b32_e64 v3, 0, 1, vcc
	v_lshl_or_b32 v3, v3, 9, v11
	v_cmp_eq_u32_e32 vcc, s10, v7
	v_cndmask_b32_e32 v3, v5, v3, vcc
	v_lshrrev_b32_e32 v5, 16, v15
	v_and_or_b32 v3, v5, s11, v3
	v_and_or_b32 v5, v10, s6, v9
	v_cmp_ne_u32_e32 vcc, 0, v5
	v_cndmask_b32_e64 v5, 0, 1, vcc
	v_lshrrev_b32_e32 v7, 8, v10
	v_bfe_u32 v9, v10, 20, 11
	v_and_or_b32 v5, v7, s7, v5
	v_sub_u32_e32 v14, 0x3f1, v9
	v_or_b32_e32 v7, 0x1000, v5
	v_med3_i32 v14, v14, 0, 13
	v_lshrrev_b32_e32 v15, v14, v7
	v_lshlrev_b32_e32 v14, v14, v15
	v_cmp_ne_u32_e32 vcc, v14, v7
	v_cndmask_b32_e64 v7, 0, 1, vcc
	v_or_b32_e32 v7, v15, v7
	buffer_load_dword v15, off, s[20:23], 0 offset:24 ; 4-byte Folded Reload
	v_add_u32_e32 v9, 0xfffffc10, v9
	v_lshl_or_b32 v14, v9, 12, v5
	v_cmp_gt_i32_e32 vcc, 1, v9
	v_cndmask_b32_e32 v7, v14, v7, vcc
	v_and_b32_e32 v14, 7, v7
	v_cmp_lt_i32_e32 vcc, 5, v14
	v_cmp_eq_u32_e64 s[0:1], 3, v14
	v_lshrrev_b32_e32 v7, 2, v7
	s_or_b64 vcc, s[0:1], vcc
	v_addc_co_u32_e32 v7, vcc, 0, v7, vcc
	v_cmp_gt_i32_e32 vcc, 31, v9
	v_cndmask_b32_e32 v7, v11, v7, vcc
	v_cmp_ne_u32_e32 vcc, 0, v5
	v_cndmask_b32_e64 v5, 0, 1, vcc
	v_lshl_or_b32 v5, v5, 9, v11
	v_cmp_eq_u32_e32 vcc, s10, v9
	v_cndmask_b32_e32 v5, v7, v5, vcc
	v_lshrrev_b32_e32 v7, 16, v10
	v_and_or_b32 v5, v7, s11, v5
	v_and_b32_e32 v3, 0xffff, v3
	v_lshl_or_b32 v3, v5, 16, v3
	v_mov_b32_e32 v5, s4
	v_add_co_u32_e32 v12, vcc, s5, v12
	v_addc_co_u32_e32 v13, vcc, v13, v5, vcc
	global_store_dword v[12:13], v3, off
	s_waitcnt vmcnt(1)
	v_mul_f16_sdwa v14, v15, v16 dst_sel:DWORD dst_unused:UNUSED_PAD src0_sel:WORD_1 src1_sel:DWORD
	v_fma_f16 v14, v15, v0, v14
	v_cvt_f32_f16_e32 v14, v14
	v_mov_b32_e32 v17, v15
	v_mul_f16_sdwa v0, v17, v0 dst_sel:DWORD dst_unused:UNUSED_PAD src0_sel:WORD_1 src1_sel:DWORD
	v_fma_f16 v0, v17, v16, -v0
	v_cvt_f64_f32_e32 v[14:15], v14
	v_cvt_f32_f16_e32 v0, v0
	v_mul_f64 v[9:10], v[14:15], s[2:3]
	v_and_or_b32 v3, v10, s6, v9
	v_cmp_ne_u32_e32 vcc, 0, v3
	v_cndmask_b32_e64 v3, 0, 1, vcc
	v_lshrrev_b32_e32 v5, 8, v10
	v_bfe_u32 v7, v10, 20, 11
	v_and_or_b32 v3, v5, s7, v3
	v_sub_u32_e32 v9, 0x3f1, v7
	v_or_b32_e32 v5, 0x1000, v3
	v_med3_i32 v9, v9, 0, 13
	v_lshrrev_b32_e32 v14, v9, v5
	v_lshlrev_b32_e32 v9, v9, v14
	v_cmp_ne_u32_e32 vcc, v9, v5
	v_cndmask_b32_e64 v5, 0, 1, vcc
	v_or_b32_e32 v5, v14, v5
	v_add_u32_e32 v7, 0xfffffc10, v7
	v_cvt_f64_f32_e32 v[14:15], v0
	v_lshl_or_b32 v9, v7, 12, v3
	v_cmp_gt_i32_e32 vcc, 1, v7
	v_cndmask_b32_e32 v5, v9, v5, vcc
	v_and_b32_e32 v9, 7, v5
	v_cmp_lt_i32_e32 vcc, 5, v9
	v_cmp_eq_u32_e64 s[0:1], 3, v9
	v_mul_f64 v[14:15], v[14:15], s[2:3]
	v_lshrrev_b32_e32 v5, 2, v5
	s_or_b64 vcc, s[0:1], vcc
	v_addc_co_u32_e32 v0, vcc, 0, v5, vcc
	v_cmp_gt_i32_e32 vcc, 31, v7
	v_cndmask_b32_e32 v0, v11, v0, vcc
	v_cmp_ne_u32_e32 vcc, 0, v3
	v_cndmask_b32_e64 v3, 0, 1, vcc
	v_lshl_or_b32 v3, v3, 9, v11
	v_cmp_eq_u32_e32 vcc, s10, v7
	v_cndmask_b32_e32 v0, v0, v3, vcc
	v_lshrrev_b32_e32 v3, 16, v10
	v_and_or_b32 v0, v3, s11, v0
	v_and_or_b32 v3, v15, s6, v14
	v_cmp_ne_u32_e32 vcc, 0, v3
	v_cndmask_b32_e64 v3, 0, 1, vcc
	v_lshrrev_b32_e32 v5, 8, v15
	v_bfe_u32 v7, v15, 20, 11
	v_and_or_b32 v3, v5, s7, v3
	v_sub_u32_e32 v9, 0x3f1, v7
	v_or_b32_e32 v5, 0x1000, v3
	v_med3_i32 v9, v9, 0, 13
	v_lshrrev_b32_e32 v10, v9, v5
	v_lshlrev_b32_e32 v9, v9, v10
	v_cmp_ne_u32_e32 vcc, v9, v5
	v_cndmask_b32_e64 v5, 0, 1, vcc
	v_or_b32_e32 v5, v10, v5
	buffer_load_dword v10, off, s[20:23], 0 offset:20 ; 4-byte Folded Reload
	v_add_u32_e32 v7, 0xfffffc10, v7
	v_lshl_or_b32 v9, v7, 12, v3
	v_cmp_gt_i32_e32 vcc, 1, v7
	v_cndmask_b32_e32 v5, v9, v5, vcc
	v_and_b32_e32 v9, 7, v5
	v_lshrrev_b32_e32 v14, 16, v4
	v_cmp_lt_i32_e32 vcc, 5, v9
	v_cmp_eq_u32_e64 s[0:1], 3, v9
	v_lshrrev_b32_e32 v5, 2, v5
	s_or_b64 vcc, s[0:1], vcc
	v_addc_co_u32_e32 v5, vcc, 0, v5, vcc
	v_cmp_gt_i32_e32 vcc, 31, v7
	v_cndmask_b32_e32 v5, v11, v5, vcc
	v_cmp_ne_u32_e32 vcc, 0, v3
	v_cndmask_b32_e64 v3, 0, 1, vcc
	v_lshl_or_b32 v3, v3, 9, v11
	v_cmp_eq_u32_e32 vcc, s10, v7
	v_cndmask_b32_e32 v3, v5, v3, vcc
	v_lshrrev_b32_e32 v5, 16, v15
	v_and_or_b32 v3, v5, s11, v3
	v_and_b32_e32 v0, 0xffff, v0
	v_lshl_or_b32 v0, v3, 16, v0
	v_mov_b32_e32 v3, s9
	v_add_co_u32_e32 v12, vcc, s8, v12
	v_addc_co_u32_e32 v13, vcc, v13, v3, vcc
	global_store_dword v[12:13], v0, off
	s_waitcnt vmcnt(1)
	v_mul_f16_sdwa v9, v10, v14 dst_sel:DWORD dst_unused:UNUSED_PAD src0_sel:WORD_1 src1_sel:DWORD
	v_fma_f16 v9, v10, v4, v9
	v_cvt_f32_f16_e32 v9, v9
	v_mov_b32_e32 v16, v10
	v_mul_f16_sdwa v4, v16, v4 dst_sel:DWORD dst_unused:UNUSED_PAD src0_sel:WORD_1 src1_sel:DWORD
	v_fma_f16 v4, v16, v14, -v4
	v_cvt_f64_f32_e32 v[9:10], v9
	v_cvt_f32_f16_e32 v4, v4
	v_lshrrev_b32_e32 v14, 16, v1
	v_mul_f64 v[9:10], v[9:10], s[2:3]
	v_and_or_b32 v0, v10, s6, v9
	v_cmp_ne_u32_e32 vcc, 0, v0
	v_cndmask_b32_e64 v0, 0, 1, vcc
	v_lshrrev_b32_e32 v3, 8, v10
	v_bfe_u32 v5, v10, 20, 11
	v_and_or_b32 v0, v3, s7, v0
	v_sub_u32_e32 v7, 0x3f1, v5
	v_or_b32_e32 v3, 0x1000, v0
	v_med3_i32 v7, v7, 0, 13
	v_lshrrev_b32_e32 v9, v7, v3
	v_lshlrev_b32_e32 v7, v7, v9
	v_cmp_ne_u32_e32 vcc, v7, v3
	v_cndmask_b32_e64 v3, 0, 1, vcc
	v_add_u32_e32 v5, 0xfffffc10, v5
	v_or_b32_e32 v3, v9, v3
	v_lshl_or_b32 v7, v5, 12, v0
	v_cmp_gt_i32_e32 vcc, 1, v5
	v_cndmask_b32_e32 v3, v7, v3, vcc
	v_and_b32_e32 v7, 7, v3
	v_cmp_lt_i32_e32 vcc, 5, v7
	v_cmp_eq_u32_e64 s[0:1], 3, v7
	v_lshrrev_b32_e32 v7, 2, v3
	v_cvt_f64_f32_e32 v[3:4], v4
	s_or_b64 vcc, s[0:1], vcc
	v_addc_co_u32_e32 v7, vcc, 0, v7, vcc
	v_mul_f64 v[3:4], v[3:4], s[2:3]
	v_cmp_gt_i32_e32 vcc, 31, v5
	v_cndmask_b32_e32 v7, v11, v7, vcc
	v_cmp_ne_u32_e32 vcc, 0, v0
	v_cndmask_b32_e64 v0, 0, 1, vcc
	v_lshl_or_b32 v0, v0, 9, v11
	v_cmp_eq_u32_e32 vcc, s10, v5
	v_cndmask_b32_e32 v0, v7, v0, vcc
	v_and_or_b32 v3, v4, s6, v3
	v_lshrrev_b32_e32 v5, 16, v10
	v_cmp_ne_u32_e32 vcc, 0, v3
	v_and_or_b32 v0, v5, s11, v0
	v_cndmask_b32_e64 v3, 0, 1, vcc
	v_lshrrev_b32_e32 v5, 8, v4
	v_bfe_u32 v7, v4, 20, 11
	v_and_or_b32 v3, v5, s7, v3
	v_sub_u32_e32 v9, 0x3f1, v7
	v_or_b32_e32 v5, 0x1000, v3
	v_med3_i32 v9, v9, 0, 13
	v_lshrrev_b32_e32 v10, v9, v5
	v_lshlrev_b32_e32 v9, v9, v10
	v_cmp_ne_u32_e32 vcc, v9, v5
	v_cndmask_b32_e64 v5, 0, 1, vcc
	v_or_b32_e32 v5, v10, v5
	buffer_load_dword v10, off, s[20:23], 0 offset:16 ; 4-byte Folded Reload
	v_add_u32_e32 v7, 0xfffffc10, v7
	v_lshl_or_b32 v9, v7, 12, v3
	v_cmp_gt_i32_e32 vcc, 1, v7
	v_cndmask_b32_e32 v5, v9, v5, vcc
	v_and_b32_e32 v9, 7, v5
	v_cmp_lt_i32_e32 vcc, 5, v9
	v_cmp_eq_u32_e64 s[0:1], 3, v9
	v_lshrrev_b32_e32 v5, 2, v5
	s_or_b64 vcc, s[0:1], vcc
	v_addc_co_u32_e32 v5, vcc, 0, v5, vcc
	v_cmp_gt_i32_e32 vcc, 31, v7
	v_cndmask_b32_e32 v5, v11, v5, vcc
	v_cmp_ne_u32_e32 vcc, 0, v3
	v_cndmask_b32_e64 v3, 0, 1, vcc
	v_lshl_or_b32 v3, v3, 9, v11
	v_cmp_eq_u32_e32 vcc, s10, v7
	v_cndmask_b32_e32 v3, v5, v3, vcc
	v_lshrrev_b32_e32 v4, 16, v4
	v_and_or_b32 v5, v4, s11, v3
	v_and_b32_e32 v0, 0xffff, v0
	v_lshl_or_b32 v0, v5, 16, v0
	v_mov_b32_e32 v5, s4
	s_waitcnt vmcnt(0)
	v_mul_f16_sdwa v9, v10, v14 dst_sel:DWORD dst_unused:UNUSED_PAD src0_sel:WORD_1 src1_sel:DWORD
	v_fma_f16 v9, v10, v1, v9
	v_cvt_f32_f16_e32 v9, v9
	v_mov_b32_e32 v15, v10
	v_mul_f16_sdwa v1, v15, v1 dst_sel:DWORD dst_unused:UNUSED_PAD src0_sel:WORD_1 src1_sel:DWORD
	v_fma_f16 v1, v15, v14, -v1
	v_cvt_f64_f32_e32 v[9:10], v9
	v_cvt_f32_f16_e32 v1, v1
	v_mul_f64 v[3:4], v[9:10], s[2:3]
	v_add_co_u32_e32 v9, vcc, s5, v12
	v_addc_co_u32_e32 v10, vcc, v13, v5, vcc
	buffer_load_dword v13, off, s[20:23], 0 offset:12 ; 4-byte Folded Reload
	v_bfe_u32 v5, v4, 20, 11
	global_store_dword v[9:10], v0, off
	v_and_or_b32 v0, v4, s6, v3
	v_cmp_ne_u32_e32 vcc, 0, v0
	v_cndmask_b32_e64 v0, 0, 1, vcc
	v_lshrrev_b32_e32 v3, 8, v4
	v_and_or_b32 v3, v3, s7, v0
	v_sub_u32_e32 v7, 0x3f1, v5
	v_or_b32_e32 v0, 0x1000, v3
	v_med3_i32 v7, v7, 0, 13
	v_lshrrev_b32_e32 v12, v7, v0
	v_lshlrev_b32_e32 v7, v7, v12
	v_cmp_ne_u32_e32 vcc, v7, v0
	v_cndmask_b32_e64 v0, 0, 1, vcc
	v_add_u32_e32 v5, 0xfffffc10, v5
	v_or_b32_e32 v0, v12, v0
	v_lshl_or_b32 v7, v5, 12, v3
	v_cmp_gt_i32_e32 vcc, 1, v5
	v_cndmask_b32_e32 v0, v7, v0, vcc
	v_and_b32_e32 v7, 7, v0
	v_cmp_lt_i32_e32 vcc, 5, v7
	v_cmp_eq_u32_e64 s[0:1], 3, v7
	v_lshrrev_b32_e32 v7, 2, v0
	v_cvt_f64_f32_e32 v[0:1], v1
	s_or_b64 vcc, s[0:1], vcc
	v_addc_co_u32_e32 v7, vcc, 0, v7, vcc
	v_mul_f64 v[0:1], v[0:1], s[2:3]
	v_cmp_gt_i32_e32 vcc, 31, v5
	v_cndmask_b32_e32 v7, v11, v7, vcc
	v_cmp_ne_u32_e32 vcc, 0, v3
	v_cndmask_b32_e64 v3, 0, 1, vcc
	v_lshl_or_b32 v3, v3, 9, v11
	v_cmp_eq_u32_e32 vcc, s10, v5
	v_cndmask_b32_e32 v3, v7, v3, vcc
	v_and_or_b32 v0, v1, s6, v0
	v_lshrrev_b32_e32 v4, 16, v4
	v_cmp_ne_u32_e32 vcc, 0, v0
	v_and_or_b32 v5, v4, s11, v3
	v_cndmask_b32_e64 v0, 0, 1, vcc
	v_lshrrev_b32_e32 v3, 8, v1
	v_bfe_u32 v4, v1, 20, 11
	v_and_or_b32 v0, v3, s7, v0
	v_sub_u32_e32 v7, 0x3f1, v4
	v_or_b32_e32 v3, 0x1000, v0
	v_med3_i32 v7, v7, 0, 13
	v_lshrrev_b32_e32 v12, v7, v3
	v_lshlrev_b32_e32 v7, v7, v12
	v_cmp_ne_u32_e32 vcc, v7, v3
	v_cndmask_b32_e64 v3, 0, 1, vcc
	v_add_u32_e32 v4, 0xfffffc10, v4
	v_or_b32_e32 v3, v12, v3
	v_lshl_or_b32 v7, v4, 12, v0
	v_cmp_gt_i32_e32 vcc, 1, v4
	v_cndmask_b32_e32 v3, v7, v3, vcc
	v_and_b32_e32 v7, 7, v3
	v_cmp_lt_i32_e32 vcc, 5, v7
	v_cmp_eq_u32_e64 s[0:1], 3, v7
	v_lshrrev_b32_e32 v7, 16, v6
	v_lshrrev_b32_e32 v3, 2, v3
	s_or_b64 vcc, s[0:1], vcc
	v_addc_co_u32_e32 v3, vcc, 0, v3, vcc
	v_cmp_gt_i32_e32 vcc, 31, v4
	v_cndmask_b32_e32 v3, v11, v3, vcc
	v_cmp_ne_u32_e32 vcc, 0, v0
	v_cndmask_b32_e64 v0, 0, 1, vcc
	v_lshl_or_b32 v0, v0, 9, v11
	v_cmp_eq_u32_e32 vcc, s10, v4
	v_cndmask_b32_e32 v0, v3, v0, vcc
	v_lshrrev_b32_e32 v1, 16, v1
	v_and_b32_e32 v5, 0xffff, v5
	s_waitcnt vmcnt(1)
	v_mul_f16_sdwa v12, v13, v7 dst_sel:DWORD dst_unused:UNUSED_PAD src0_sel:WORD_1 src1_sel:DWORD
	v_fma_f16 v12, v13, v6, v12
	v_cvt_f32_f16_e32 v12, v12
	v_mul_f16_sdwa v6, v13, v6 dst_sel:DWORD dst_unused:UNUSED_PAD src0_sel:WORD_1 src1_sel:DWORD
	v_fma_f16 v6, v13, v7, -v6
	v_cvt_f32_f16_e32 v6, v6
	v_cvt_f64_f32_e32 v[3:4], v12
	v_and_or_b32 v12, v1, s11, v0
	v_lshl_or_b32 v5, v12, 16, v5
	v_mul_f64 v[0:1], v[3:4], s[2:3]
	v_mov_b32_e32 v4, s4
	v_add_co_u32_e32 v3, vcc, s5, v9
	v_addc_co_u32_e32 v4, vcc, v10, v4, vcc
	global_store_dword v[3:4], v5, off
	v_and_or_b32 v0, v1, s6, v0
	v_cmp_ne_u32_e32 vcc, 0, v0
	v_cndmask_b32_e64 v0, 0, 1, vcc
	v_lshrrev_b32_e32 v5, 8, v1
	v_bfe_u32 v9, v1, 20, 11
	v_and_or_b32 v0, v5, s7, v0
	v_sub_u32_e32 v10, 0x3f1, v9
	v_or_b32_e32 v5, 0x1000, v0
	v_med3_i32 v10, v10, 0, 13
	v_lshrrev_b32_e32 v12, v10, v5
	v_lshlrev_b32_e32 v10, v10, v12
	v_cmp_ne_u32_e32 vcc, v10, v5
	v_cndmask_b32_e64 v5, 0, 1, vcc
	v_or_b32_e32 v5, v12, v5
	buffer_load_dword v12, off, s[20:23], 0 offset:8 ; 4-byte Folded Reload
	v_add_u32_e32 v9, 0xfffffc10, v9
	v_lshl_or_b32 v10, v9, 12, v0
	v_cmp_gt_i32_e32 vcc, 1, v9
	v_cndmask_b32_e32 v5, v10, v5, vcc
	v_and_b32_e32 v10, 7, v5
	v_lshrrev_b32_e32 v7, 2, v5
	v_cvt_f64_f32_e32 v[5:6], v6
	v_cmp_lt_i32_e32 vcc, 5, v10
	v_cmp_eq_u32_e64 s[0:1], 3, v10
	s_or_b64 vcc, s[0:1], vcc
	v_mul_f64 v[5:6], v[5:6], s[2:3]
	v_addc_co_u32_e32 v7, vcc, 0, v7, vcc
	v_cmp_gt_i32_e32 vcc, 31, v9
	v_cndmask_b32_e32 v7, v11, v7, vcc
	v_cmp_ne_u32_e32 vcc, 0, v0
	v_cndmask_b32_e64 v0, 0, 1, vcc
	v_lshl_or_b32 v0, v0, 9, v11
	v_cmp_eq_u32_e32 vcc, s10, v9
	v_cndmask_b32_e32 v0, v7, v0, vcc
	v_lshrrev_b32_e32 v1, 16, v1
	v_and_or_b32 v7, v1, s11, v0
	v_and_or_b32 v0, v6, s6, v5
	v_cmp_ne_u32_e32 vcc, 0, v0
	v_cndmask_b32_e64 v0, 0, 1, vcc
	v_lshrrev_b32_e32 v1, 8, v6
	v_bfe_u32 v5, v6, 20, 11
	v_and_or_b32 v0, v1, s7, v0
	v_sub_u32_e32 v9, 0x3f1, v5
	v_or_b32_e32 v1, 0x1000, v0
	v_med3_i32 v9, v9, 0, 13
	v_lshrrev_b32_e32 v10, v9, v1
	v_lshlrev_b32_e32 v9, v9, v10
	v_cmp_ne_u32_e32 vcc, v9, v1
	v_cndmask_b32_e64 v1, 0, 1, vcc
	v_add_u32_e32 v5, 0xfffffc10, v5
	v_or_b32_e32 v1, v10, v1
	v_lshl_or_b32 v9, v5, 12, v0
	v_cmp_gt_i32_e32 vcc, 1, v5
	v_cndmask_b32_e32 v1, v9, v1, vcc
	v_and_b32_e32 v9, 7, v1
	v_cmp_lt_i32_e32 vcc, 5, v9
	v_cmp_eq_u32_e64 s[0:1], 3, v9
	v_lshrrev_b32_e32 v9, 16, v2
	v_lshrrev_b32_e32 v1, 2, v1
	s_or_b64 vcc, s[0:1], vcc
	v_addc_co_u32_e32 v1, vcc, 0, v1, vcc
	v_cmp_gt_i32_e32 vcc, 31, v5
	v_cndmask_b32_e32 v1, v11, v1, vcc
	v_cmp_ne_u32_e32 vcc, 0, v0
	v_cndmask_b32_e64 v0, 0, 1, vcc
	v_lshl_or_b32 v0, v0, 9, v11
	v_cmp_eq_u32_e32 vcc, s10, v5
	v_cndmask_b32_e32 v5, v1, v0, vcc
	v_lshrrev_b32_e32 v6, 16, v6
	v_and_or_b32 v5, v6, s11, v5
	v_and_b32_e32 v6, 0xffff, v7
	v_lshl_or_b32 v5, v5, 16, v6
	v_mov_b32_e32 v6, s4
	v_add_co_u32_e32 v3, vcc, s5, v3
	v_addc_co_u32_e32 v4, vcc, v4, v6, vcc
	global_store_dword v[3:4], v5, off
	s_waitcnt vmcnt(1)
	v_mul_f16_sdwa v10, v12, v9 dst_sel:DWORD dst_unused:UNUSED_PAD src0_sel:WORD_1 src1_sel:DWORD
	v_fma_f16 v10, v12, v2, v10
	v_cvt_f32_f16_e32 v10, v10
	v_mul_f16_sdwa v2, v12, v2 dst_sel:DWORD dst_unused:UNUSED_PAD src0_sel:WORD_1 src1_sel:DWORD
	v_fma_f16 v2, v12, v9, -v2
	v_cvt_f32_f16_e32 v2, v2
	v_cvt_f64_f32_e32 v[0:1], v10
	v_mul_f64 v[0:1], v[0:1], s[2:3]
	v_and_or_b32 v0, v1, s6, v0
	v_cmp_ne_u32_e32 vcc, 0, v0
	v_cndmask_b32_e64 v0, 0, 1, vcc
	v_lshrrev_b32_e32 v5, 8, v1
	v_bfe_u32 v6, v1, 20, 11
	v_and_or_b32 v0, v5, s7, v0
	v_sub_u32_e32 v7, 0x3f1, v6
	v_or_b32_e32 v5, 0x1000, v0
	v_med3_i32 v7, v7, 0, 13
	v_lshrrev_b32_e32 v10, v7, v5
	v_lshlrev_b32_e32 v7, v7, v10
	v_cmp_ne_u32_e32 vcc, v7, v5
	v_cndmask_b32_e64 v5, 0, 1, vcc
	v_or_b32_e32 v5, v10, v5
	buffer_load_dword v10, off, s[20:23], 0 offset:4 ; 4-byte Folded Reload
	v_add_u32_e32 v7, 0xfffffc10, v6
	v_lshl_or_b32 v6, v7, 12, v0
	v_cmp_gt_i32_e32 vcc, 1, v7
	v_cndmask_b32_e32 v5, v6, v5, vcc
	v_and_b32_e32 v6, 7, v5
	v_cmp_lt_i32_e32 vcc, 5, v6
	v_cmp_eq_u32_e64 s[0:1], 3, v6
	v_lshrrev_b32_e32 v9, 2, v5
	v_cvt_f64_f32_e32 v[5:6], v2
	s_or_b64 vcc, s[0:1], vcc
	v_addc_co_u32_e32 v2, vcc, 0, v9, vcc
	v_mul_f64 v[5:6], v[5:6], s[2:3]
	v_cmp_gt_i32_e32 vcc, 31, v7
	v_cndmask_b32_e32 v2, v11, v2, vcc
	v_cmp_ne_u32_e32 vcc, 0, v0
	v_cndmask_b32_e64 v0, 0, 1, vcc
	v_lshl_or_b32 v0, v0, 9, v11
	v_cmp_eq_u32_e32 vcc, s10, v7
	v_cndmask_b32_e32 v0, v2, v0, vcc
	v_lshrrev_b32_e32 v1, 16, v1
	v_and_or_b32 v2, v1, s11, v0
	v_and_or_b32 v0, v6, s6, v5
	v_cmp_ne_u32_e32 vcc, 0, v0
	v_cndmask_b32_e64 v0, 0, 1, vcc
	v_lshrrev_b32_e32 v1, 8, v6
	v_bfe_u32 v5, v6, 20, 11
	v_and_or_b32 v0, v1, s7, v0
	v_sub_u32_e32 v7, 0x3f1, v5
	v_or_b32_e32 v1, 0x1000, v0
	v_med3_i32 v7, v7, 0, 13
	v_lshrrev_b32_e32 v9, v7, v1
	v_lshlrev_b32_e32 v7, v7, v9
	v_cmp_ne_u32_e32 vcc, v7, v1
	v_cndmask_b32_e64 v1, 0, 1, vcc
	v_add_u32_e32 v5, 0xfffffc10, v5
	v_or_b32_e32 v1, v9, v1
	v_lshl_or_b32 v7, v5, 12, v0
	v_cmp_gt_i32_e32 vcc, 1, v5
	v_cndmask_b32_e32 v1, v7, v1, vcc
	v_and_b32_e32 v7, 7, v1
	v_cmp_lt_i32_e32 vcc, 5, v7
	v_cmp_eq_u32_e64 s[0:1], 3, v7
	v_lshrrev_b32_e32 v7, 16, v8
	v_lshrrev_b32_e32 v1, 2, v1
	s_or_b64 vcc, s[0:1], vcc
	v_addc_co_u32_e32 v1, vcc, 0, v1, vcc
	v_cmp_gt_i32_e32 vcc, 31, v5
	v_cndmask_b32_e32 v1, v11, v1, vcc
	v_cmp_ne_u32_e32 vcc, 0, v0
	v_cndmask_b32_e64 v0, 0, 1, vcc
	v_lshl_or_b32 v0, v0, 9, v11
	v_cmp_eq_u32_e32 vcc, s10, v5
	v_cndmask_b32_e32 v5, v1, v0, vcc
	v_lshrrev_b32_e32 v6, 16, v6
	v_and_or_b32 v5, v6, s11, v5
	v_and_b32_e32 v2, 0xffff, v2
	v_lshl_or_b32 v5, v5, 16, v2
	v_mov_b32_e32 v6, s4
	v_add_co_u32_e32 v2, vcc, s5, v3
	v_addc_co_u32_e32 v3, vcc, v4, v6, vcc
	global_store_dword v[2:3], v5, off
	s_waitcnt vmcnt(1)
	v_mul_f16_sdwa v9, v10, v7 dst_sel:DWORD dst_unused:UNUSED_PAD src0_sel:WORD_1 src1_sel:DWORD
	v_fma_f16 v9, v10, v8, v9
	v_mul_f16_sdwa v8, v10, v8 dst_sel:DWORD dst_unused:UNUSED_PAD src0_sel:WORD_1 src1_sel:DWORD
	v_fma_f16 v7, v10, v7, -v8
	buffer_load_dword v10, off, s[20:23], 0 ; 4-byte Folded Reload
	v_cvt_f32_f16_e32 v9, v9
	v_cvt_f32_f16_e32 v7, v7
	v_cvt_f64_f32_e32 v[0:1], v9
	v_mul_f64 v[0:1], v[0:1], s[2:3]
	v_and_or_b32 v0, v1, s6, v0
	v_cmp_ne_u32_e32 vcc, 0, v0
	v_cndmask_b32_e64 v0, 0, 1, vcc
	v_lshrrev_b32_e32 v4, 8, v1
	v_bfe_u32 v5, v1, 20, 11
	v_and_or_b32 v0, v4, s7, v0
	v_sub_u32_e32 v6, 0x3f1, v5
	v_or_b32_e32 v4, 0x1000, v0
	v_med3_i32 v6, v6, 0, 13
	v_lshrrev_b32_e32 v9, v6, v4
	v_lshlrev_b32_e32 v6, v6, v9
	v_cmp_ne_u32_e32 vcc, v6, v4
	v_cndmask_b32_e64 v4, 0, 1, vcc
	v_add_u32_e32 v6, 0xfffffc10, v5
	v_or_b32_e32 v4, v9, v4
	v_lshl_or_b32 v5, v6, 12, v0
	v_cmp_gt_i32_e32 vcc, 1, v6
	v_cndmask_b32_e32 v4, v5, v4, vcc
	v_and_b32_e32 v5, 7, v4
	v_cmp_lt_i32_e32 vcc, 5, v5
	v_cmp_eq_u32_e64 s[0:1], 3, v5
	v_lshrrev_b32_e32 v8, 2, v4
	v_cvt_f64_f32_e32 v[4:5], v7
	s_or_b64 vcc, s[0:1], vcc
	v_addc_co_u32_e32 v7, vcc, 0, v8, vcc
	v_mul_f64 v[4:5], v[4:5], s[2:3]
	v_cmp_gt_i32_e32 vcc, 31, v6
	v_cndmask_b32_e32 v7, v11, v7, vcc
	v_cmp_ne_u32_e32 vcc, 0, v0
	v_cndmask_b32_e64 v0, 0, 1, vcc
	v_lshl_or_b32 v0, v0, 9, v11
	v_cmp_eq_u32_e32 vcc, s10, v6
	v_cndmask_b32_e32 v0, v7, v0, vcc
	v_lshrrev_b32_e32 v1, 16, v1
	v_and_or_b32 v6, v1, s11, v0
	v_and_or_b32 v0, v5, s6, v4
	v_cmp_ne_u32_e32 vcc, 0, v0
	v_cndmask_b32_e64 v0, 0, 1, vcc
	v_lshrrev_b32_e32 v1, 8, v5
	v_bfe_u32 v4, v5, 20, 11
	v_and_or_b32 v0, v1, s7, v0
	v_sub_u32_e32 v7, 0x3f1, v4
	v_or_b32_e32 v1, 0x1000, v0
	v_med3_i32 v7, v7, 0, 13
	v_lshrrev_b32_e32 v8, v7, v1
	v_lshlrev_b32_e32 v7, v7, v8
	v_cmp_ne_u32_e32 vcc, v7, v1
	v_cndmask_b32_e64 v1, 0, 1, vcc
	v_add_u32_e32 v4, 0xfffffc10, v4
	v_or_b32_e32 v1, v8, v1
	v_lshl_or_b32 v7, v4, 12, v0
	v_cmp_gt_i32_e32 vcc, 1, v4
	v_cndmask_b32_e32 v1, v7, v1, vcc
	v_and_b32_e32 v7, 7, v1
	v_cmp_lt_i32_e32 vcc, 5, v7
	v_cmp_eq_u32_e64 s[0:1], 3, v7
	ds_read_b32 v7, v134 offset:9408
	v_lshrrev_b32_e32 v1, 2, v1
	s_or_b64 vcc, s[0:1], vcc
	v_addc_co_u32_e32 v1, vcc, 0, v1, vcc
	s_waitcnt lgkmcnt(0)
	v_lshrrev_b32_e32 v8, 16, v7
	s_waitcnt vmcnt(0)
	v_mul_f16_sdwa v9, v10, v8 dst_sel:DWORD dst_unused:UNUSED_PAD src0_sel:WORD_1 src1_sel:DWORD
	v_fma_f16 v9, v10, v7, v9
	v_cmp_gt_i32_e32 vcc, 31, v4
	v_cvt_f32_f16_e32 v9, v9
	v_cndmask_b32_e32 v1, v11, v1, vcc
	v_cmp_ne_u32_e32 vcc, 0, v0
	v_cndmask_b32_e64 v0, 0, 1, vcc
	v_lshl_or_b32 v0, v0, 9, v11
	v_cmp_eq_u32_e32 vcc, s10, v4
	v_cndmask_b32_e32 v4, v1, v0, vcc
	v_cvt_f64_f32_e32 v[0:1], v9
	v_lshrrev_b32_e32 v5, 16, v5
	v_and_or_b32 v4, v5, s11, v4
	v_and_b32_e32 v5, 0xffff, v6
	v_mul_f64 v[0:1], v[0:1], s[2:3]
	v_lshl_or_b32 v4, v4, 16, v5
	v_mov_b32_e32 v5, s4
	v_add_co_u32_e32 v2, vcc, s5, v2
	v_addc_co_u32_e32 v3, vcc, v3, v5, vcc
	global_store_dword v[2:3], v4, off
	v_and_or_b32 v0, v1, s6, v0
	v_cmp_ne_u32_e32 vcc, 0, v0
	v_cndmask_b32_e64 v0, 0, 1, vcc
	v_lshrrev_b32_e32 v4, 8, v1
	v_bfe_u32 v5, v1, 20, 11
	v_and_or_b32 v0, v4, s7, v0
	v_sub_u32_e32 v6, 0x3f1, v5
	v_or_b32_e32 v4, 0x1000, v0
	v_med3_i32 v6, v6, 0, 13
	v_lshrrev_b32_e32 v9, v6, v4
	v_lshlrev_b32_e32 v6, v6, v9
	v_mul_f16_sdwa v7, v10, v7 dst_sel:DWORD dst_unused:UNUSED_PAD src0_sel:WORD_1 src1_sel:DWORD
	v_cmp_ne_u32_e32 vcc, v6, v4
	v_fma_f16 v7, v10, v8, -v7
	v_cndmask_b32_e64 v4, 0, 1, vcc
	v_add_u32_e32 v6, 0xfffffc10, v5
	v_cvt_f32_f16_e32 v7, v7
	v_or_b32_e32 v4, v9, v4
	v_lshl_or_b32 v5, v6, 12, v0
	v_cmp_gt_i32_e32 vcc, 1, v6
	v_cndmask_b32_e32 v4, v5, v4, vcc
	v_and_b32_e32 v5, 7, v4
	v_cmp_lt_i32_e32 vcc, 5, v5
	v_cmp_eq_u32_e64 s[0:1], 3, v5
	v_lshrrev_b32_e32 v8, 2, v4
	v_cvt_f64_f32_e32 v[4:5], v7
	s_or_b64 vcc, s[0:1], vcc
	v_addc_co_u32_e32 v7, vcc, 0, v8, vcc
	v_mul_f64 v[4:5], v[4:5], s[2:3]
	v_cmp_gt_i32_e32 vcc, 31, v6
	v_cndmask_b32_e32 v7, v11, v7, vcc
	v_cmp_ne_u32_e32 vcc, 0, v0
	v_cndmask_b32_e64 v0, 0, 1, vcc
	v_lshl_or_b32 v0, v0, 9, v11
	v_cmp_eq_u32_e32 vcc, s10, v6
	v_cndmask_b32_e32 v0, v7, v0, vcc
	v_lshrrev_b32_e32 v1, 16, v1
	v_and_or_b32 v0, v1, s11, v0
	v_and_or_b32 v1, v5, s6, v4
	v_cmp_ne_u32_e32 vcc, 0, v1
	v_cndmask_b32_e64 v1, 0, 1, vcc
	v_lshrrev_b32_e32 v4, 8, v5
	v_bfe_u32 v6, v5, 20, 11
	v_and_or_b32 v1, v4, s7, v1
	v_sub_u32_e32 v7, 0x3f1, v6
	v_or_b32_e32 v4, 0x1000, v1
	v_med3_i32 v7, v7, 0, 13
	v_lshrrev_b32_e32 v8, v7, v4
	v_lshlrev_b32_e32 v7, v7, v8
	v_cmp_ne_u32_e32 vcc, v7, v4
	v_cndmask_b32_e64 v4, 0, 1, vcc
	v_add_u32_e32 v6, 0xfffffc10, v6
	v_or_b32_e32 v4, v8, v4
	v_lshl_or_b32 v7, v6, 12, v1
	v_cmp_gt_i32_e32 vcc, 1, v6
	v_cndmask_b32_e32 v4, v7, v4, vcc
	v_and_b32_e32 v7, 7, v4
	v_cmp_lt_i32_e32 vcc, 5, v7
	v_cmp_eq_u32_e64 s[0:1], 3, v7
	v_lshrrev_b32_e32 v4, 2, v4
	s_or_b64 vcc, s[0:1], vcc
	v_addc_co_u32_e32 v4, vcc, 0, v4, vcc
	v_cmp_gt_i32_e32 vcc, 31, v6
	v_cndmask_b32_e32 v4, v11, v4, vcc
	v_cmp_ne_u32_e32 vcc, 0, v1
	v_cndmask_b32_e64 v1, 0, 1, vcc
	v_lshl_or_b32 v1, v1, 9, v11
	v_cmp_eq_u32_e32 vcc, s10, v6
	v_cndmask_b32_e32 v1, v4, v1, vcc
	v_lshrrev_b32_e32 v4, 16, v5
	v_and_or_b32 v1, v4, s11, v1
	v_and_b32_e32 v0, 0xffff, v0
	v_lshl_or_b32 v4, v1, 16, v0
	v_mov_b32_e32 v1, s4
	v_add_co_u32_e32 v0, vcc, s5, v2
	v_addc_co_u32_e32 v1, vcc, v3, v1, vcc
	global_store_dword v[0:1], v4, off
.LBB0_2:
	s_endpgm
	.section	.rodata,"a",@progbits
	.p2align	6, 0x0
	.amdhsa_kernel bluestein_single_back_len2401_dim1_half_op_CI_CI
		.amdhsa_group_segment_fixed_size 9604
		.amdhsa_private_segment_fixed_size 244
		.amdhsa_kernarg_size 104
		.amdhsa_user_sgpr_count 6
		.amdhsa_user_sgpr_private_segment_buffer 1
		.amdhsa_user_sgpr_dispatch_ptr 0
		.amdhsa_user_sgpr_queue_ptr 0
		.amdhsa_user_sgpr_kernarg_segment_ptr 1
		.amdhsa_user_sgpr_dispatch_id 0
		.amdhsa_user_sgpr_flat_scratch_init 0
		.amdhsa_user_sgpr_private_segment_size 0
		.amdhsa_uses_dynamic_stack 0
		.amdhsa_system_sgpr_private_segment_wavefront_offset 1
		.amdhsa_system_sgpr_workgroup_id_x 1
		.amdhsa_system_sgpr_workgroup_id_y 0
		.amdhsa_system_sgpr_workgroup_id_z 0
		.amdhsa_system_sgpr_workgroup_info 0
		.amdhsa_system_vgpr_workitem_id 0
		.amdhsa_next_free_vgpr 256
		.amdhsa_next_free_sgpr 24
		.amdhsa_reserve_vcc 1
		.amdhsa_reserve_flat_scratch 0
		.amdhsa_float_round_mode_32 0
		.amdhsa_float_round_mode_16_64 0
		.amdhsa_float_denorm_mode_32 3
		.amdhsa_float_denorm_mode_16_64 3
		.amdhsa_dx10_clamp 1
		.amdhsa_ieee_mode 1
		.amdhsa_fp16_overflow 0
		.amdhsa_exception_fp_ieee_invalid_op 0
		.amdhsa_exception_fp_denorm_src 0
		.amdhsa_exception_fp_ieee_div_zero 0
		.amdhsa_exception_fp_ieee_overflow 0
		.amdhsa_exception_fp_ieee_underflow 0
		.amdhsa_exception_fp_ieee_inexact 0
		.amdhsa_exception_int_div_zero 0
	.end_amdhsa_kernel
	.text
.Lfunc_end0:
	.size	bluestein_single_back_len2401_dim1_half_op_CI_CI, .Lfunc_end0-bluestein_single_back_len2401_dim1_half_op_CI_CI
                                        ; -- End function
	.section	.AMDGPU.csdata,"",@progbits
; Kernel info:
; codeLenInByte = 75480
; NumSgprs: 28
; NumVgprs: 256
; ScratchSize: 244
; MemoryBound: 0
; FloatMode: 240
; IeeeMode: 1
; LDSByteSize: 9604 bytes/workgroup (compile time only)
; SGPRBlocks: 3
; VGPRBlocks: 63
; NumSGPRsForWavesPerEU: 28
; NumVGPRsForWavesPerEU: 256
; Occupancy: 1
; WaveLimiterHint : 1
; COMPUTE_PGM_RSRC2:SCRATCH_EN: 1
; COMPUTE_PGM_RSRC2:USER_SGPR: 6
; COMPUTE_PGM_RSRC2:TRAP_HANDLER: 0
; COMPUTE_PGM_RSRC2:TGID_X_EN: 1
; COMPUTE_PGM_RSRC2:TGID_Y_EN: 0
; COMPUTE_PGM_RSRC2:TGID_Z_EN: 0
; COMPUTE_PGM_RSRC2:TIDIG_COMP_CNT: 0
	.type	__hip_cuid_692cbe150b8cab84,@object ; @__hip_cuid_692cbe150b8cab84
	.section	.bss,"aw",@nobits
	.globl	__hip_cuid_692cbe150b8cab84
__hip_cuid_692cbe150b8cab84:
	.byte	0                               ; 0x0
	.size	__hip_cuid_692cbe150b8cab84, 1

	.ident	"AMD clang version 19.0.0git (https://github.com/RadeonOpenCompute/llvm-project roc-6.4.0 25133 c7fe45cf4b819c5991fe208aaa96edf142730f1d)"
	.section	".note.GNU-stack","",@progbits
	.addrsig
	.addrsig_sym __hip_cuid_692cbe150b8cab84
	.amdgpu_metadata
---
amdhsa.kernels:
  - .args:
      - .actual_access:  read_only
        .address_space:  global
        .offset:         0
        .size:           8
        .value_kind:     global_buffer
      - .actual_access:  read_only
        .address_space:  global
        .offset:         8
        .size:           8
        .value_kind:     global_buffer
      - .actual_access:  read_only
        .address_space:  global
        .offset:         16
        .size:           8
        .value_kind:     global_buffer
      - .actual_access:  read_only
        .address_space:  global
        .offset:         24
        .size:           8
        .value_kind:     global_buffer
      - .actual_access:  read_only
        .address_space:  global
        .offset:         32
        .size:           8
        .value_kind:     global_buffer
      - .offset:         40
        .size:           8
        .value_kind:     by_value
      - .address_space:  global
        .offset:         48
        .size:           8
        .value_kind:     global_buffer
      - .address_space:  global
        .offset:         56
        .size:           8
        .value_kind:     global_buffer
      - .address_space:  global
        .offset:         64
        .size:           8
        .value_kind:     global_buffer
      - .address_space:  global
        .offset:         72
        .size:           8
        .value_kind:     global_buffer
      - .offset:         80
        .size:           4
        .value_kind:     by_value
      - .address_space:  global
        .offset:         88
        .size:           8
        .value_kind:     global_buffer
      - .address_space:  global
        .offset:         96
        .size:           8
        .value_kind:     global_buffer
    .group_segment_fixed_size: 9604
    .kernarg_segment_align: 8
    .kernarg_segment_size: 104
    .language:       OpenCL C
    .language_version:
      - 2
      - 0
    .max_flat_workgroup_size: 49
    .name:           bluestein_single_back_len2401_dim1_half_op_CI_CI
    .private_segment_fixed_size: 244
    .sgpr_count:     28
    .sgpr_spill_count: 0
    .symbol:         bluestein_single_back_len2401_dim1_half_op_CI_CI.kd
    .uniform_work_group_size: 1
    .uses_dynamic_stack: false
    .vgpr_count:     256
    .vgpr_spill_count: 60
    .wavefront_size: 64
amdhsa.target:   amdgcn-amd-amdhsa--gfx906
amdhsa.version:
  - 1
  - 2
...

	.end_amdgpu_metadata
